;; amdgpu-corpus repo=ROCm/rocFFT kind=compiled arch=gfx1201 opt=O3
	.text
	.amdgcn_target "amdgcn-amd-amdhsa--gfx1201"
	.amdhsa_code_object_version 6
	.protected	bluestein_single_fwd_len1176_dim1_sp_op_CI_CI ; -- Begin function bluestein_single_fwd_len1176_dim1_sp_op_CI_CI
	.globl	bluestein_single_fwd_len1176_dim1_sp_op_CI_CI
	.p2align	8
	.type	bluestein_single_fwd_len1176_dim1_sp_op_CI_CI,@function
bluestein_single_fwd_len1176_dim1_sp_op_CI_CI: ; @bluestein_single_fwd_len1176_dim1_sp_op_CI_CI
; %bb.0:
	s_load_b128 s[12:15], s[0:1], 0x28
	v_mul_u32_u24_e32 v1, 0x493, v0
	s_mov_b32 s2, exec_lo
	v_mov_b32_e32 v135, 0
	s_delay_alu instid0(VALU_DEP_2) | instskip(NEXT) | instid1(VALU_DEP_1)
	v_lshrrev_b32_e32 v1, 16, v1
	v_add_nc_u32_e32 v134, ttmp9, v1
	s_wait_kmcnt 0x0
	s_delay_alu instid0(VALU_DEP_1)
	v_cmpx_gt_u64_e64 s[12:13], v[134:135]
	s_cbranch_execz .LBB0_31
; %bb.1:
	s_clause 0x1
	s_load_b128 s[4:7], s[0:1], 0x18
	s_load_b64 s[12:13], s[0:1], 0x0
	v_mul_lo_u16 v1, v1, 56
	s_movk_i32 s2, 0xfdec
	s_mov_b32 s3, -1
	s_delay_alu instid0(VALU_DEP_1) | instskip(NEXT) | instid1(VALU_DEP_1)
	v_sub_nc_u16 v52, v0, v1
	v_and_b32_e32 v171, 0xffff, v52
	s_delay_alu instid0(VALU_DEP_1)
	v_or_b32_e32 v170, 0x1c0, v171
	s_wait_kmcnt 0x0
	s_load_b128 s[8:11], s[4:5], 0x0
	s_wait_kmcnt 0x0
	v_mad_co_u64_u32 v[0:1], null, s10, v134, 0
	v_mad_co_u64_u32 v[2:3], null, s8, v171, 0
	s_mul_u64 s[4:5], s[8:9], 0x24c
	s_mul_u64 s[2:3], s[8:9], s[2:3]
	s_delay_alu instid0(SALU_CYCLE_1) | instskip(NEXT) | instid1(VALU_DEP_1)
	s_lshl_b64 s[2:3], s[2:3], 3
	v_mad_co_u64_u32 v[4:5], null, s11, v134, v[1:2]
	s_lshl_b64 s[10:11], s[4:5], 3
	s_delay_alu instid0(VALU_DEP_1) | instskip(SKIP_1) | instid1(VALU_DEP_1)
	v_mad_co_u64_u32 v[5:6], null, s9, v171, v[3:4]
	v_mov_b32_e32 v1, v4
	v_lshlrev_b64_e32 v[0:1], 3, v[0:1]
	s_delay_alu instid0(VALU_DEP_3) | instskip(SKIP_1) | instid1(VALU_DEP_2)
	v_mov_b32_e32 v3, v5
	v_mad_co_u64_u32 v[4:5], null, s8, v170, 0
	v_lshlrev_b64_e32 v[2:3], 3, v[2:3]
	s_delay_alu instid0(VALU_DEP_4) | instskip(SKIP_1) | instid1(VALU_DEP_2)
	v_add_co_u32 v14, vcc_lo, s14, v0
	v_add_co_ci_u32_e32 v15, vcc_lo, s15, v1, vcc_lo
	v_add_co_u32 v0, vcc_lo, v14, v2
	s_wait_alu 0xfffd
	s_delay_alu instid0(VALU_DEP_2)
	v_add_co_ci_u32_e32 v1, vcc_lo, v15, v3, vcc_lo
	v_mov_b32_e32 v2, v5
	s_wait_alu 0xfffe
	v_add_co_u32 v6, vcc_lo, v0, s10
	s_wait_alu 0xfffd
	v_add_co_ci_u32_e32 v7, vcc_lo, s11, v1, vcc_lo
	v_mad_co_u64_u32 v[2:3], null, s9, v170, v[2:3]
	s_delay_alu instid0(VALU_DEP_3) | instskip(SKIP_3) | instid1(VALU_DEP_3)
	v_add_co_u32 v8, vcc_lo, v6, s2
	v_lshlrev_b32_e32 v169, 3, v171
	s_wait_alu 0xfffd
	v_add_co_ci_u32_e32 v9, vcc_lo, s3, v7, vcc_lo
	v_add_co_u32 v10, vcc_lo, v8, s10
	s_clause 0x7
	global_load_b64 v[157:158], v169, s[12:13] offset:4704
	global_load_b64 v[155:156], v169, s[12:13] offset:5152
	global_load_b64 v[161:162], v169, s[12:13]
	global_load_b64 v[159:160], v169, s[12:13] offset:448
	global_load_b64 v[153:154], v169, s[12:13] offset:896
	;; [unrolled: 1-line block ×5, first 2 shown]
	s_wait_alu 0xfffd
	v_add_co_ci_u32_e32 v11, vcc_lo, s11, v9, vcc_lo
	global_load_b64 v[16:17], v[0:1], off
	v_mov_b32_e32 v5, v2
	v_add_co_u32 v2, vcc_lo, v10, s2
	s_wait_alu 0xfffd
	v_add_co_ci_u32_e32 v3, vcc_lo, s3, v11, vcc_lo
	s_delay_alu instid0(VALU_DEP_3) | instskip(NEXT) | instid1(VALU_DEP_3)
	v_lshlrev_b64_e32 v[4:5], 3, v[4:5]
	v_add_co_u32 v12, vcc_lo, v2, s10
	s_wait_alu 0xfffd
	s_delay_alu instid0(VALU_DEP_3)
	v_add_co_ci_u32_e32 v13, vcc_lo, s11, v3, vcc_lo
	global_load_b64 v[6:7], v[6:7], off
	v_add_co_u32 v4, vcc_lo, v14, v4
	s_wait_alu 0xfffd
	v_add_co_ci_u32_e32 v5, vcc_lo, v15, v5, vcc_lo
	v_add_co_u32 v14, vcc_lo, v12, s2
	s_wait_alu 0xfffd
	v_add_co_ci_u32_e32 v15, vcc_lo, s3, v13, vcc_lo
	global_load_b64 v[18:19], v[4:5], off
	v_add_co_u32 v0, vcc_lo, v14, s10
	s_wait_alu 0xfffd
	v_add_co_ci_u32_e32 v1, vcc_lo, s11, v15, vcc_lo
	s_clause 0x1
	global_load_b64 v[139:140], v169, s[12:13] offset:1792
	global_load_b64 v[122:123], v169, s[12:13] offset:3584
	v_add_co_u32 v4, vcc_lo, v0, s2
	s_wait_alu 0xfffd
	v_add_co_ci_u32_e32 v5, vcc_lo, s3, v1, vcc_lo
	s_clause 0x1
	global_load_b64 v[8:9], v[8:9], off
	global_load_b64 v[10:11], v[10:11], off
	v_add_co_u32 v20, vcc_lo, v4, s10
	s_wait_alu 0xfffd
	v_add_co_ci_u32_e32 v21, vcc_lo, s11, v5, vcc_lo
	global_load_b64 v[24:25], v[2:3], off
	v_add_co_u32 v22, vcc_lo, v20, s2
	s_wait_alu 0xfffd
	v_add_co_ci_u32_e32 v23, vcc_lo, s3, v21, vcc_lo
	global_load_b64 v[30:31], v[0:1], off
	v_add_co_u32 v2, vcc_lo, v22, s10
	s_wait_alu 0xfffd
	v_add_co_ci_u32_e32 v3, vcc_lo, s11, v23, vcc_lo
	global_load_b64 v[32:33], v[4:5], off
	v_add_co_u32 v26, vcc_lo, v2, s2
	s_wait_alu 0xfffd
	v_add_co_ci_u32_e32 v27, vcc_lo, s3, v3, vcc_lo
	global_load_b64 v[12:13], v[12:13], off
	v_add_co_u32 v28, vcc_lo, v26, s10
	s_wait_alu 0xfffd
	v_add_co_ci_u32_e32 v29, vcc_lo, s11, v27, vcc_lo
	global_load_b64 v[14:15], v[14:15], off
	v_add_co_u32 v0, vcc_lo, v28, s2
	s_wait_alu 0xfffd
	v_add_co_ci_u32_e32 v1, vcc_lo, s3, v29, vcc_lo
	global_load_b64 v[143:144], v169, s[12:13] offset:2240
	global_load_b64 v[20:21], v[20:21], off
	global_load_b64 v[145:146], v169, s[12:13] offset:6496
	v_add_co_u32 v4, vcc_lo, v0, s10
	s_wait_alu 0xfffd
	v_add_co_ci_u32_e32 v5, vcc_lo, s11, v1, vcc_lo
	global_load_b64 v[22:23], v[22:23], off
	global_load_b64 v[141:142], v169, s[12:13] offset:6944
	global_load_b64 v[36:37], v[2:3], off
	v_mad_co_u64_u32 v[34:35], null, 0x1c0, s8, v[4:5]
	s_delay_alu instid0(VALU_DEP_1)
	v_mov_b32_e32 v2, v35
	global_load_b64 v[132:133], v169, s[12:13] offset:7392
	global_load_b64 v[28:29], v[28:29], off
	global_load_b64 v[26:27], v[26:27], off
	s_clause 0x3
	global_load_b64 v[137:138], v169, s[12:13] offset:2688
	global_load_b64 v[135:136], v169, s[12:13] offset:3136
	;; [unrolled: 1-line block ×4, first 2 shown]
	global_load_b64 v[38:39], v[0:1], off
	v_add_nc_u32_e32 v54, 0x1c00, v169
	global_load_b64 v[40:41], v[4:5], off
	v_mad_co_u64_u32 v[2:3], null, 0x1c0, s9, v[2:3]
	v_add_nc_u32_e32 v53, 0x1400, v169
	v_add_nc_u32_e32 v5, 0x1000, v169
	v_add_nc_u32_e32 v4, 0x400, v169
	v_add_co_u32 v120, s14, s12, v169
	s_wait_alu 0xf1ff
	v_add_co_ci_u32_e64 v121, null, s13, 0, s14
	v_mov_b32_e32 v35, v2
	v_add_co_u32 v2, vcc_lo, v34, s2
	s_wait_alu 0xfffd
	s_delay_alu instid0(VALU_DEP_2)
	v_add_co_ci_u32_e32 v3, vcc_lo, s3, v35, vcc_lo
	global_load_b64 v[34:35], v[34:35], off
	v_add_co_u32 v0, vcc_lo, v2, s10
	s_wait_alu 0xfffd
	v_add_co_ci_u32_e32 v1, vcc_lo, s11, v3, vcc_lo
	global_load_b64 v[126:127], v169, s[12:13] offset:4032
	global_load_b64 v[42:43], v[2:3], off
	global_load_b64 v[128:129], v169, s[12:13] offset:8736
	global_load_b64 v[44:45], v[0:1], off
	v_add_nc_u32_e32 v3, 0x1800, v169
	s_load_b64 s[8:9], s[0:1], 0x38
	s_load_b128 s[4:7], s[6:7], 0x0
	v_add_nc_u32_e32 v2, 0x800, v169
	v_cmp_gt_u16_e32 vcc_lo, 28, v52
	s_wait_loadcnt 0x1f
	v_mul_f32_e32 v46, v17, v162
	v_mul_f32_e32 v47, v16, v162
	s_delay_alu instid0(VALU_DEP_2) | instskip(SKIP_2) | instid1(VALU_DEP_1)
	v_fmac_f32_e32 v46, v16, v161
	s_wait_loadcnt 0x1e
	v_mul_f32_e32 v16, v7, v158
	v_fmac_f32_e32 v16, v6, v157
	v_fma_f32 v47, v17, v161, -v47
	s_wait_loadcnt 0x1b
	v_mul_f32_e32 v49, v18, v123
	v_mul_f32_e32 v48, v19, v123
	s_wait_loadcnt 0x1a
	v_dual_mul_f32 v50, v9, v160 :: v_dual_mul_f32 v17, v6, v158
	s_delay_alu instid0(VALU_DEP_2) | instskip(SKIP_2) | instid1(VALU_DEP_3)
	v_dual_mul_f32 v51, v8, v160 :: v_dual_fmac_f32 v48, v18, v122
	s_wait_loadcnt 0x19
	v_mul_f32_e32 v6, v11, v156
	v_fmac_f32_e32 v50, v8, v159
	v_fma_f32 v17, v7, v157, -v17
	v_fma_f32 v51, v9, v159, -v51
	v_mul_f32_e32 v7, v10, v156
	v_fma_f32 v49, v19, v122, -v49
	ds_store_b64 v169, v[16:17] offset:4704
	s_wait_loadcnt 0x18
	v_mul_f32_e32 v16, v24, v154
	ds_store_2addr_b64 v169, v[46:47], v[50:51] offset1:56
	s_wait_loadcnt 0x15
	v_mul_f32_e32 v8, v13, v152
	v_mul_f32_e32 v9, v12, v152
	s_delay_alu instid0(VALU_DEP_2) | instskip(SKIP_2) | instid1(VALU_DEP_3)
	v_fmac_f32_e32 v8, v12, v151
	s_wait_loadcnt 0x14
	v_mul_f32_e32 v12, v15, v150
	v_fma_f32 v9, v13, v151, -v9
	v_mul_f32_e32 v13, v14, v150
	v_fmac_f32_e32 v6, v10, v155
	v_mul_f32_e32 v10, v25, v154
	v_fma_f32 v7, v11, v155, -v7
	v_fmac_f32_e32 v12, v14, v149
	s_wait_loadcnt 0x10
	v_mul_f32_e32 v17, v22, v144
	v_fma_f32 v13, v15, v149, -v13
	v_mul_f32_e32 v14, v21, v146
	ds_store_2addr_b64 v5, v[6:7], v[8:9] offset0:132 offset1:188
	v_mul_f32_e32 v7, v30, v148
	v_fma_f32 v11, v25, v153, -v16
	v_mul_f32_e32 v8, v33, v140
	v_mul_f32_e32 v9, v32, v140
	;; [unrolled: 1-line block ×3, first 2 shown]
	v_dual_mul_f32 v6, v31, v148 :: v_dual_mul_f32 v15, v20, v146
	v_fmac_f32_e32 v10, v24, v153
	v_fmac_f32_e32 v8, v32, v139
	v_fma_f32 v9, v33, v139, -v9
	v_fmac_f32_e32 v16, v22, v143
	v_fma_f32 v17, v23, v143, -v17
	;; [unrolled: 2-line block ×4, first 2 shown]
	s_wait_loadcnt 0xe
	v_mul_f32_e32 v18, v37, v142
	ds_store_2addr_b64 v169, v[10:11], v[12:13] offset0:112 offset1:168
	ds_store_2addr_b64 v53, v[6:7], v[14:15] offset0:116 offset1:172
	s_wait_loadcnt 0xc
	v_dual_mul_f32 v7, v36, v142 :: v_dual_mul_f32 v6, v29, v133
	s_wait_loadcnt 0xa
	v_mul_f32_e32 v10, v26, v138
	s_wait_loadcnt 0x6
	v_dual_fmac_f32 v18, v36, v141 :: v_dual_mul_f32 v11, v38, v136
	v_fma_f32 v19, v37, v141, -v7
	v_fmac_f32_e32 v6, v28, v132
	s_delay_alu instid0(VALU_DEP_3)
	v_fma_f32 v11, v39, v135, -v11
	s_wait_loadcnt 0x4
	v_mul_f32_e32 v13, v34, v125
	ds_store_2addr_b64 v4, v[8:9], v[16:17] offset0:96 offset1:152
	v_dual_mul_f32 v9, v28, v133 :: v_dual_mul_f32 v8, v27, v138
	v_mul_f32_e32 v12, v35, v125
	s_wait_loadcnt 0x0
	v_dual_mul_f32 v17, v44, v129 :: v_dual_mul_f32 v14, v43, v127
	s_delay_alu instid0(VALU_DEP_3)
	v_fma_f32 v7, v29, v132, -v9
	v_fma_f32 v9, v27, v137, -v10
	v_dual_mul_f32 v10, v39, v136 :: v_dual_mul_f32 v15, v42, v127
	v_mul_f32_e32 v16, v45, v129
	ds_store_2addr_b64 v3, v[18:19], v[6:7] offset0:100 offset1:156
	v_mul_f32_e32 v6, v41, v131
	v_dual_mul_f32 v7, v40, v131 :: v_dual_fmac_f32 v8, v26, v137
	v_fmac_f32_e32 v10, v38, v135
	v_fmac_f32_e32 v12, v34, v124
	s_delay_alu instid0(VALU_DEP_4) | instskip(NEXT) | instid1(VALU_DEP_4)
	v_fmac_f32_e32 v6, v40, v130
	v_fma_f32 v7, v41, v130, -v7
	v_fma_f32 v13, v35, v124, -v13
	v_fmac_f32_e32 v14, v42, v126
	v_fma_f32 v15, v43, v126, -v15
	v_fmac_f32_e32 v16, v44, v128
	v_fma_f32 v17, v45, v128, -v17
	ds_store_2addr_b64 v2, v[8:9], v[10:11] offset0:80 offset1:136
	ds_store_2addr_b64 v54, v[6:7], v[12:13] offset0:84 offset1:140
	;; [unrolled: 1-line block ×3, first 2 shown]
	ds_store_b64 v169, v[16:17] offset:8736
	s_and_saveexec_b32 s14, vcc_lo
	s_cbranch_execz .LBB0_3
; %bb.2:
	v_add_co_u32 v0, s2, v0, s2
	s_wait_alu 0xf1ff
	v_add_co_ci_u32_e64 v1, s2, s3, v1, s2
	s_delay_alu instid0(VALU_DEP_2) | instskip(SKIP_1) | instid1(VALU_DEP_2)
	v_add_co_u32 v6, s2, v0, s10
	s_wait_alu 0xf1ff
	v_add_co_ci_u32_e64 v7, s2, s11, v1, s2
	global_load_b64 v[0:1], v[0:1], off
	s_clause 0x1
	global_load_b64 v[8:9], v[120:121], off offset:4480
	global_load_b64 v[10:11], v[120:121], off offset:9184
	global_load_b64 v[6:7], v[6:7], off
	s_wait_loadcnt 0x2
	v_mul_f32_e32 v12, v1, v9
	v_mul_f32_e32 v13, v0, v9
	s_wait_loadcnt 0x0
	v_mul_f32_e32 v9, v7, v11
	s_delay_alu instid0(VALU_DEP_3) | instskip(NEXT) | instid1(VALU_DEP_3)
	v_dual_mul_f32 v11, v6, v11 :: v_dual_fmac_f32 v12, v0, v8
	v_fma_f32 v13, v1, v8, -v13
	s_delay_alu instid0(VALU_DEP_3) | instskip(NEXT) | instid1(VALU_DEP_3)
	v_fmac_f32_e32 v9, v6, v10
	v_fma_f32 v10, v7, v10, -v11
	ds_store_b64 v169, v[12:13] offset:4480
	ds_store_b64 v169, v[9:10] offset:9184
.LBB0_3:
	s_wait_alu 0xfffe
	s_or_b32 exec_lo, exec_lo, s14
	v_add_nc_u32_e32 v0, 0x2000, v169
	global_wb scope:SCOPE_SE
	s_wait_dscnt 0x0
	s_wait_kmcnt 0x0
	s_barrier_signal -1
	s_barrier_wait -1
	global_inv scope:SCOPE_SE
	ds_load_2addr_b64 v[23:26], v169 offset1:56
	ds_load_2addr_b64 v[35:38], v5 offset0:76 offset1:132
	ds_load_2addr_b64 v[11:14], v169 offset0:112 offset1:168
	;; [unrolled: 1-line block ×9, first 2 shown]
                                        ; implicit-def: $vgpr43
                                        ; implicit-def: $vgpr0
	s_and_saveexec_b32 s2, vcc_lo
	s_cbranch_execz .LBB0_5
; %bb.4:
	ds_load_b64 v[0:1], v169 offset:4480
	ds_load_b64 v[43:44], v169 offset:9184
.LBB0_5:
	s_wait_alu 0xfffe
	s_or_b32 exec_lo, exec_lo, s2
	s_load_b64 s[0:1], s[0:1], 0x8
	v_add_co_u32 v46, s2, v171, 56
	s_wait_dscnt 0x8
	v_dual_sub_f32 v54, v23, v35 :: v_dual_sub_f32 v55, v24, v36
	v_dual_sub_f32 v38, v26, v38 :: v_dual_lshlrev_b32 v51, 1, v171
	s_wait_dscnt 0x6
	v_dual_sub_f32 v37, v25, v37 :: v_dual_sub_f32 v28, v12, v28
	v_dual_sub_f32 v27, v11, v27 :: v_dual_sub_f32 v62, v14, v30
	s_wait_dscnt 0x4
	v_dual_sub_f32 v61, v13, v29 :: v_dual_sub_f32 v66, v8, v40
	v_sub_f32_e32 v65, v7, v39
	s_wait_dscnt 0x0
	v_sub_f32_e32 v15, v3, v15
	s_wait_alu 0xf1ff
	v_add_co_ci_u32_e64 v2, null, 0, 0, s2
	v_add_co_u32 v45, s2, 0x70, v171
	s_wait_alu 0xf1ff
	v_add_co_ci_u32_e64 v2, null, 0, 0, s2
	v_add_co_u32 v50, null, 0xa8, v171
	v_add_co_u32 v49, null, 0xe0, v171
	;; [unrolled: 1-line block ×5, first 2 shown]
	v_fma_f32 v52, v23, 2.0, -v54
	v_fma_f32 v53, v24, 2.0, -v55
	;; [unrolled: 1-line block ×7, first 2 shown]
	v_dual_sub_f32 v11, v9, v41 :: v_dual_sub_f32 v32, v20, v32
	v_sub_f32_e32 v12, v10, v42
	v_fma_f32 v63, v7, 2.0, -v65
	v_fma_f32 v64, v8, 2.0, -v66
	v_dual_sub_f32 v31, v19, v31 :: v_dual_sub_f32 v24, v22, v34
	v_dual_sub_f32 v7, v5, v17 :: v_dual_sub_f32 v2, v0, v43
	v_sub_f32_e32 v8, v6, v18
	v_fma_f32 v13, v3, 2.0, -v15
	v_dual_sub_f32 v3, v1, v44 :: v_dual_lshlrev_b32 v176, 4, v45
	v_lshlrev_b32_e32 v119, 4, v171
	v_dual_sub_f32 v23, v21, v33 :: v_dual_sub_f32 v16, v4, v16
	v_fma_f32 v60, v14, 2.0, -v62
	v_fma_f32 v9, v9, 2.0, -v11
	;; [unrolled: 1-line block ×7, first 2 shown]
	global_wb scope:SCOPE_SE
	s_wait_kmcnt 0x0
	s_barrier_signal -1
	s_barrier_wait -1
	v_lshlrev_b32_e32 v175, 4, v46
	global_inv scope:SCOPE_SE
	ds_store_b128 v119, v[52:55]
	v_lshlrev_b32_e32 v52, 1, v46
	v_lshlrev_b32_e32 v44, 1, v45
	v_lshlrev_b32_e32 v177, 4, v50
	v_lshlrev_b32_e32 v178, 4, v49
	v_lshlrev_b32_e32 v56, 1, v50
	v_lshlrev_b32_e32 v179, 4, v47
	v_lshlrev_b32_e32 v57, 1, v49
	v_lshlrev_b32_e32 v55, 1, v47
	v_lshlrev_b32_e32 v53, 1, v48
	v_lshlrev_b32_e32 v180, 4, v48
	v_add_nc_u32_e32 v78, 0x310, v51
	v_lshlrev_b32_e32 v54, 1, v170
	v_lshlrev_b32_e32 v182, 4, v170
	v_add_nc_u32_e32 v199, 0x3f0, v51
	v_lshlrev_b32_e32 v181, 4, v58
	v_fma_f32 v21, v21, 2.0, -v23
	v_fma_f32 v22, v22, 2.0, -v24
	;; [unrolled: 1-line block ×3, first 2 shown]
	v_lshlrev_b32_e32 v4, 3, v51
	v_fma_f32 v5, v5, 2.0, -v7
	v_fma_f32 v6, v6, 2.0, -v8
	ds_store_b128 v175, v[35:38]
	ds_store_b128 v176, v[25:28]
	;; [unrolled: 1-line block ×6, first 2 shown]
	ds_store_b128 v4, v[21:24] offset:6272
	ds_store_b128 v182, v[13:16]
	ds_store_b128 v4, v[5:8] offset:8064
	s_and_saveexec_b32 s2, vcc_lo
	s_cbranch_execz .LBB0_7
; %bb.6:
	ds_store_b128 v181, v[0:3]
.LBB0_7:
	s_wait_alu 0xfffe
	s_or_b32 exec_lo, exec_lo, s2
	v_add_nc_u32_e32 v12, 0x1000, v169
	v_add_nc_u32_e32 v16, 0x1800, v169
	;; [unrolled: 1-line block ×5, first 2 shown]
	global_wb scope:SCOPE_SE
	s_wait_dscnt 0x0
	s_barrier_signal -1
	s_barrier_wait -1
	global_inv scope:SCOPE_SE
	ds_load_2addr_b64 v[4:7], v169 offset1:56
	ds_load_2addr_b64 v[24:27], v12 offset0:76 offset1:132
	ds_load_2addr_b64 v[8:11], v169 offset0:112 offset1:168
	;; [unrolled: 1-line block ×9, first 2 shown]
	s_and_saveexec_b32 s2, vcc_lo
	s_cbranch_execz .LBB0_9
; %bb.8:
	ds_load_b64 v[0:1], v169 offset:4480
	ds_load_b64 v[2:3], v169 offset:9184
.LBB0_9:
	s_wait_alu 0xfffe
	s_or_b32 exec_lo, exec_lo, s2
	v_and_b32_e32 v173, 1, v171
	s_delay_alu instid0(VALU_DEP_1)
	v_lshlrev_b32_e32 v59, 3, v173
	global_load_b64 v[165:166], v59, s[0:1]
	v_lshlrev_b32_e32 v172, 1, v58
	v_and_or_b32 v58, 0x7c, v51, v173
	global_wb scope:SCOPE_SE
	s_wait_loadcnt_dscnt 0x0
	s_barrier_signal -1
	s_barrier_wait -1
	global_inv scope:SCOPE_SE
	v_lshlrev_b32_e32 v192, 3, v58
	v_mul_f32_e32 v58, v25, v166
	v_and_or_b32 v59, 0xfc, v52, v173
	v_and_or_b32 v60, 0x1fc, v44, v173
	;; [unrolled: 1-line block ×6, first 2 shown]
	v_mul_f32_e32 v73, v38, v166
	v_mul_f32_e32 v80, v2, v166
	v_and_or_b32 v67, 0x7fc, v199, v173
	v_lshlrev_b32_e32 v191, 3, v59
	v_dual_mul_f32 v59, v24, v166 :: v_dual_lshlrev_b32 v190, 3, v60
	v_lshlrev_b32_e32 v189, 3, v61
	v_lshlrev_b32_e32 v187, 3, v63
	v_dual_mul_f32 v61, v26, v166 :: v_dual_lshlrev_b32 v186, 3, v64
	v_mul_f32_e32 v60, v27, v166
	v_mul_f32_e32 v64, v31, v166
	v_fmac_f32_e32 v73, v39, v165
	v_dual_mul_f32 v63, v28, v166 :: v_dual_fmac_f32 v80, v3, v165
	v_lshlrev_b32_e32 v188, 3, v62
	v_mul_f32_e32 v62, v29, v166
	v_and_or_b32 v65, 0x3fc, v78, v173
	s_delay_alu instid0(VALU_DEP_4)
	v_fmac_f32_e32 v63, v29, v165
	v_and_or_b32 v66, 0x3fc, v54, v173
	v_dual_mul_f32 v70, v37, v166 :: v_dual_lshlrev_b32 v183, 3, v67
	v_fmac_f32_e32 v59, v25, v165
	v_fma_f32 v25, v26, v165, -v60
	v_fma_f32 v26, v28, v165, -v62
	;; [unrolled: 1-line block ×3, first 2 shown]
	v_dual_mul_f32 v68, v43, v166 :: v_dual_lshlrev_b32 v185, 3, v65
	v_mul_f32_e32 v67, v40, v166
	s_delay_alu instid0(VALU_DEP_3)
	v_dual_mul_f32 v71, v36, v166 :: v_dual_sub_f32 v28, v10, v28
	v_mul_f32_e32 v76, v35, v166
	v_mul_f32_e32 v79, v3, v166
	v_fma_f32 v24, v24, v165, -v58
	v_mul_f32_e32 v65, v30, v166
	v_lshlrev_b32_e32 v184, 3, v66
	v_mul_f32_e32 v66, v41, v166
	v_fma_f32 v36, v36, v165, -v70
	v_mul_f32_e32 v69, v42, v166
	v_mul_f32_e32 v77, v34, v166
	v_fmac_f32_e32 v61, v27, v165
	v_fma_f32 v30, v40, v165, -v66
	v_fma_f32 v40, v42, v165, -v68
	v_mul_f32_e32 v75, v32, v166
	v_fmac_f32_e32 v71, v37, v165
	v_fma_f32 v42, v2, v165, -v79
	v_sub_f32_e32 v2, v4, v24
	v_sub_f32_e32 v24, v6, v25
	v_dual_mul_f32 v72, v39, v166 :: v_dual_fmac_f32 v67, v41, v165
	v_fma_f32 v41, v34, v165, -v76
	v_sub_f32_e32 v34, v20, v36
	v_dual_mul_f32 v74, v33, v166 :: v_dual_fmac_f32 v69, v43, v165
	v_fmac_f32_e32 v65, v31, v165
	v_fma_f32 v37, v38, v165, -v72
	v_dual_fmac_f32 v77, v35, v165 :: v_dual_sub_f32 v30, v12, v30
	s_delay_alu instid0(VALU_DEP_4)
	v_fma_f32 v38, v32, v165, -v74
	v_sub_f32_e32 v3, v5, v59
	v_dual_sub_f32 v25, v7, v61 :: v_dual_sub_f32 v42, v0, v42
	v_dual_sub_f32 v32, v14, v40 :: v_dual_fmac_f32 v75, v33, v165
	v_dual_sub_f32 v26, v8, v26 :: v_dual_sub_f32 v43, v1, v80
	v_dual_sub_f32 v27, v9, v63 :: v_dual_sub_f32 v58, v18, v41
	v_sub_f32_e32 v29, v11, v65
	v_sub_f32_e32 v31, v13, v67
	;; [unrolled: 1-line block ×3, first 2 shown]
	v_dual_sub_f32 v35, v21, v71 :: v_dual_sub_f32 v36, v22, v37
	v_dual_sub_f32 v37, v23, v73 :: v_dual_sub_f32 v38, v16, v38
	v_sub_f32_e32 v39, v17, v75
	v_sub_f32_e32 v59, v19, v77
	v_fma_f32 v4, v4, 2.0, -v2
	v_fma_f32 v5, v5, 2.0, -v3
	;; [unrolled: 1-line block ×22, first 2 shown]
	ds_store_2addr_b64 v192, v[4:5], v[2:3] offset1:2
	ds_store_2addr_b64 v191, v[6:7], v[24:25] offset1:2
	;; [unrolled: 1-line block ×10, first 2 shown]
	s_and_saveexec_b32 s2, vcc_lo
	s_cbranch_execz .LBB0_11
; %bb.10:
	v_and_or_b32 v0, 0x4fc, v172, v173
	s_delay_alu instid0(VALU_DEP_1)
	v_lshlrev_b32_e32 v0, 3, v0
	ds_store_2addr_b64 v0, v[40:41], v[42:43] offset1:2
.LBB0_11:
	s_wait_alu 0xfffe
	s_or_b32 exec_lo, exec_lo, s2
	v_add_nc_u32_e32 v8, 0x1000, v169
	v_add_nc_u32_e32 v12, 0x1800, v169
	;; [unrolled: 1-line block ×5, first 2 shown]
	global_wb scope:SCOPE_SE
	s_wait_dscnt 0x0
	s_barrier_signal -1
	s_barrier_wait -1
	global_inv scope:SCOPE_SE
	ds_load_2addr_b64 v[0:3], v169 offset1:56
	ds_load_2addr_b64 v[20:23], v8 offset0:76 offset1:132
	ds_load_2addr_b64 v[4:7], v169 offset0:112 offset1:168
	;; [unrolled: 1-line block ×9, first 2 shown]
	s_and_saveexec_b32 s2, vcc_lo
	s_cbranch_execz .LBB0_13
; %bb.12:
	ds_load_b64 v[40:41], v169 offset:4480
	ds_load_b64 v[42:43], v169 offset:9184
.LBB0_13:
	s_wait_alu 0xfffe
	s_or_b32 exec_lo, exec_lo, s2
	v_and_b32_e32 v174, 3, v171
	s_delay_alu instid0(VALU_DEP_1)
	v_lshlrev_b32_e32 v58, 3, v174
	v_and_or_b32 v51, 0x78, v51, v174
	global_load_b64 v[163:164], v58, s[0:1] offset:16
	v_lshlrev_b32_e32 v203, 3, v51
	global_wb scope:SCOPE_SE
	s_wait_loadcnt_dscnt 0x0
	s_barrier_signal -1
	s_barrier_wait -1
	global_inv scope:SCOPE_SE
	v_mul_f32_e32 v51, v20, v164
	v_and_or_b32 v57, 0x3f8, v57, v174
	v_and_or_b32 v55, 0x2f8, v55, v174
	;; [unrolled: 1-line block ×6, first 2 shown]
	v_lshlrev_b32_e32 v198, 3, v57
	v_lshlrev_b32_e32 v197, 3, v55
	;; [unrolled: 1-line block ×4, first 2 shown]
	v_mul_f32_e32 v55, v24, v164
	v_mul_f32_e32 v59, v36, v164
	;; [unrolled: 1-line block ×3, first 2 shown]
	v_dual_mul_f32 v57, v26, v164 :: v_dual_lshlrev_b32 v196, 3, v53
	v_dual_mul_f32 v54, v25, v164 :: v_dual_lshlrev_b32 v195, 3, v58
	v_mul_f32_e32 v58, v37, v164
	v_dual_mul_f32 v64, v35, v164 :: v_dual_fmac_f32 v59, v37, v163
	v_fmac_f32_e32 v55, v25, v163
	v_fma_f32 v37, v38, v163, -v60
	v_mul_f32_e32 v67, v28, v164
	v_mul_f32_e32 v70, v43, v164
	v_and_or_b32 v52, 0xf8, v52, v174
	v_and_or_b32 v56, 0x1f8, v56, v174
	v_mul_f32_e32 v71, v42, v164
	v_and_or_b32 v44, 0x1f8, v44, v174
	v_fma_f32 v42, v42, v163, -v70
	v_dual_fmac_f32 v51, v21, v163 :: v_dual_lshlrev_b32 v202, 3, v52
	v_mul_f32_e32 v52, v23, v164
	v_mul_f32_e32 v53, v22, v164
	v_lshlrev_b32_e32 v200, 3, v56
	v_mul_f32_e32 v56, v27, v164
	v_dual_mul_f32 v65, v34, v164 :: v_dual_sub_f32 v76, v40, v42
	v_mul_f32_e32 v66, v29, v164
	v_mul_f32_e32 v61, v38, v164
	v_fma_f32 v22, v22, v163, -v52
	v_lshlrev_b32_e32 v201, 3, v44
	v_mul_f32_e32 v44, v21, v164
	v_fma_f32 v26, v26, v163, -v56
	s_delay_alu instid0(VALU_DEP_4)
	v_dual_fmac_f32 v57, v27, v163 :: v_dual_sub_f32 v22, v2, v22
	v_fma_f32 v36, v36, v163, -v58
	v_fmac_f32_e32 v65, v35, v163
	v_fma_f32 v38, v28, v163, -v66
	v_dual_mul_f32 v63, v32, v164 :: v_dual_sub_f32 v26, v6, v26
	v_mul_f32_e32 v68, v31, v164
	v_mul_f32_e32 v69, v30, v164
	v_fma_f32 v20, v20, v163, -v44
	s_delay_alu instid0(VALU_DEP_4)
	v_fmac_f32_e32 v63, v33, v163
	v_dual_sub_f32 v21, v1, v51 :: v_dual_sub_f32 v28, v8, v36
	v_sub_f32_e32 v36, v12, v38
	v_dual_mul_f32 v62, v33, v164 :: v_dual_fmac_f32 v61, v39, v163
	v_fmac_f32_e32 v53, v23, v163
	v_fma_f32 v24, v24, v163, -v54
	v_fma_f32 v34, v34, v163, -v64
	s_delay_alu instid0(VALU_DEP_4)
	v_fma_f32 v32, v32, v163, -v62
	v_fma_f32 v39, v30, v163, -v68
	v_dual_fmac_f32 v69, v31, v163 :: v_dual_sub_f32 v20, v0, v20
	v_dual_fmac_f32 v71, v43, v163 :: v_dual_sub_f32 v24, v4, v24
	v_dual_sub_f32 v30, v10, v37 :: v_dual_fmac_f32 v67, v29, v163
	v_dual_sub_f32 v23, v3, v53 :: v_dual_sub_f32 v32, v16, v32
	v_dual_sub_f32 v25, v5, v55 :: v_dual_sub_f32 v34, v18, v34
	v_dual_sub_f32 v27, v7, v57 :: v_dual_sub_f32 v38, v14, v39
	v_sub_f32_e32 v29, v9, v59
	v_sub_f32_e32 v31, v11, v61
	;; [unrolled: 1-line block ×7, first 2 shown]
	v_fma_f32 v0, v0, 2.0, -v20
	v_fma_f32 v1, v1, 2.0, -v21
	;; [unrolled: 1-line block ×20, first 2 shown]
	ds_store_2addr_b64 v203, v[0:1], v[20:21] offset1:4
	ds_store_2addr_b64 v202, v[2:3], v[22:23] offset1:4
	;; [unrolled: 1-line block ×10, first 2 shown]
	s_and_saveexec_b32 s2, vcc_lo
	s_cbranch_execz .LBB0_15
; %bb.14:
	v_and_or_b32 v2, 0x4f8, v172, v174
	v_fma_f32 v1, v41, 2.0, -v77
	v_fma_f32 v0, v40, 2.0, -v76
	s_delay_alu instid0(VALU_DEP_3)
	v_lshlrev_b32_e32 v2, 3, v2
	ds_store_2addr_b64 v2, v[0:1], v[76:77] offset1:4
.LBB0_15:
	s_wait_alu 0xfffe
	s_or_b32 exec_lo, exec_lo, s2
	v_and_b32_e32 v4, 7, v171
	global_wb scope:SCOPE_SE
	s_wait_dscnt 0x0
	s_barrier_signal -1
	s_barrier_wait -1
	global_inv scope:SCOPE_SE
	v_lshlrev_b32_e32 v0, 4, v4
	global_load_b128 v[0:3], v0, s[0:1] offset:48
	v_add_nc_u32_e32 v79, 0x1800, v169
	v_add_nc_u32_e32 v80, 0x800, v169
	ds_load_2addr_b64 v[5:8], v79 offset0:16 offset1:72
	ds_load_2addr_b64 v[9:12], v80 offset0:192 offset1:248
	ds_load_2addr_b64 v[13:16], v79 offset0:128 offset1:184
	s_wait_loadcnt_dscnt 0x2
	v_dual_mul_f32 v28, v7, v3 :: v_dual_add_nc_u32 v81, 0x1000, v169
	v_mul_f32_e32 v25, v6, v3
	v_mul_f32_e32 v26, v5, v3
	s_wait_dscnt 0x1
	v_dual_mul_f32 v30, v9, v1 :: v_dual_mul_f32 v27, v8, v3
	v_dual_fmac_f32 v28, v8, v2 :: v_dual_mul_f32 v31, v11, v1
	v_add_nc_u32_e32 v82, 0x1c00, v169
	v_fma_f32 v25, v5, v2, -v25
	v_dual_fmac_f32 v26, v6, v2 :: v_dual_mul_f32 v5, v12, v1
	s_delay_alu instid0(VALU_DEP_4)
	v_fmac_f32_e32 v31, v12, v0
	ds_load_2addr_b64 v[17:20], v81 offset0:48 offset1:104
	ds_load_2addr_b64 v[21:24], v82 offset0:112 offset1:168
	s_wait_dscnt 0x2
	v_mul_f32_e32 v6, v14, v3
	v_fma_f32 v27, v7, v2, -v27
	v_fma_f32 v32, v11, v0, -v5
	v_mul_f32_e32 v5, v16, v3
	v_mul_f32_e32 v34, v15, v3
	v_dual_fmac_f32 v30, v10, v0 :: v_dual_mul_f32 v33, v13, v3
	v_mul_f32_e32 v29, v10, v1
	s_delay_alu instid0(VALU_DEP_4) | instskip(SKIP_1) | instid1(VALU_DEP_4)
	v_fma_f32 v36, v15, v2, -v5
	v_add_nc_u32_e32 v83, 0x400, v169
	v_fmac_f32_e32 v33, v14, v2
	s_delay_alu instid0(VALU_DEP_4)
	v_fma_f32 v29, v9, v0, -v29
	s_wait_dscnt 0x1
	v_mul_f32_e32 v38, v19, v1
	v_mul_f32_e32 v5, v20, v1
	;; [unrolled: 1-line block ×4, first 2 shown]
	v_fma_f32 v35, v13, v2, -v6
	s_wait_dscnt 0x0
	v_mul_f32_e32 v6, v22, v3
	v_fma_f32 v40, v19, v0, -v5
	v_mul_f32_e32 v5, v24, v3
	v_fma_f32 v39, v17, v0, -v7
	v_dual_fmac_f32 v38, v20, v0 :: v_dual_mul_f32 v41, v21, v3
	v_fma_f32 v43, v21, v2, -v6
	s_delay_alu instid0(VALU_DEP_4) | instskip(SKIP_4) | instid1(VALU_DEP_2)
	v_fma_f32 v44, v23, v2, -v5
	ds_load_2addr_b64 v[5:8], v81 offset0:160 offset1:216
	v_dual_mul_f32 v42, v23, v3 :: v_dual_fmac_f32 v41, v22, v2
	v_dual_fmac_f32 v34, v16, v2 :: v_dual_fmac_f32 v37, v18, v0
	s_wait_dscnt 0x0
	v_dual_fmac_f32 v42, v24, v2 :: v_dual_mul_f32 v9, v6, v1
	v_mul_f32_e32 v52, v5, v1
	v_mul_f32_e32 v54, v7, v1
	s_delay_alu instid0(VALU_DEP_3) | instskip(NEXT) | instid1(VALU_DEP_3)
	v_fma_f32 v51, v5, v0, -v9
	v_dual_mul_f32 v5, v8, v1 :: v_dual_fmac_f32 v52, v6, v0
	s_delay_alu instid0(VALU_DEP_3) | instskip(NEXT) | instid1(VALU_DEP_2)
	v_fmac_f32_e32 v54, v8, v0
	v_fma_f32 v53, v7, v0, -v5
	ds_load_2addr_b64 v[5:8], v80 offset0:80 offset1:136
	s_wait_dscnt 0x0
	v_mul_f32_e32 v9, v8, v1
	v_mul_f32_e32 v12, v7, v1
	s_delay_alu instid0(VALU_DEP_2) | instskip(NEXT) | instid1(VALU_DEP_2)
	v_fma_f32 v11, v7, v0, -v9
	v_fmac_f32_e32 v12, v8, v0
	ds_load_2addr_b64 v[7:10], v169 offset1:56
	s_wait_dscnt 0x0
	v_add_f32_e32 v13, v8, v12
	s_delay_alu instid0(VALU_DEP_1) | instskip(NEXT) | instid1(VALU_DEP_1)
	v_dual_add_f32 v20, v13, v26 :: v_dual_add_f32 v13, v7, v11
	v_add_f32_e32 v19, v13, v25
	v_sub_f32_e32 v55, v12, v26
	v_dual_add_f32 v12, v12, v26 :: v_dual_add_f32 v13, v11, v25
	v_sub_f32_e32 v25, v11, v25
	v_lshrrev_b32_e32 v11, 3, v171
	s_delay_alu instid0(VALU_DEP_3) | instskip(NEXT) | instid1(VALU_DEP_4)
	v_fma_f32 v8, -0.5, v12, v8
	v_fma_f32 v7, -0.5, v13, v7
	s_delay_alu instid0(VALU_DEP_3) | instskip(NEXT) | instid1(VALU_DEP_3)
	v_mul_u32_u24_e32 v11, 24, v11
	v_fmamk_f32 v22, v25, 0xbf5db3d7, v8
	s_delay_alu instid0(VALU_DEP_3) | instskip(SKIP_1) | instid1(VALU_DEP_4)
	v_fmamk_f32 v21, v55, 0x3f5db3d7, v7
	v_fmac_f32_e32 v7, 0xbf5db3d7, v55
	v_or_b32_e32 v11, v11, v4
	s_delay_alu instid0(VALU_DEP_1)
	v_lshlrev_b32_e32 v204, 3, v11
	ds_load_b64 v[23:24], v169 offset:8960
	ds_load_2addr_b64 v[11:14], v169 offset0:112 offset1:168
	ds_load_2addr_b64 v[15:18], v83 offset0:96 offset1:152
	global_wb scope:SCOPE_SE
	s_wait_dscnt 0x0
	s_barrier_signal -1
	s_barrier_wait -1
	global_inv scope:SCOPE_SE
	ds_store_2addr_b64 v204, v[19:20], v[21:22] offset1:8
	v_add_f32_e32 v20, v29, v27
	v_dual_fmac_f32 v8, 0x3f5db3d7, v25 :: v_dual_sub_f32 v21, v30, v28
	v_dual_sub_f32 v22, v29, v27 :: v_dual_add_f32 v19, v30, v28
	ds_store_b64 v204, v[7:8] offset:128
	v_dual_add_f32 v7, v10, v30 :: v_dual_fmac_f32 v10, -0.5, v19
	v_lshrrev_b32_e32 v19, 3, v46
	s_delay_alu instid0(VALU_DEP_2) | instskip(SKIP_1) | instid1(VALU_DEP_3)
	v_dual_add_f32 v8, v7, v28 :: v_dual_add_f32 v7, v9, v29
	v_fma_f32 v9, -0.5, v20, v9
	v_mul_u32_u24_e32 v19, 24, v19
	v_fmamk_f32 v20, v22, 0xbf5db3d7, v10
	s_delay_alu instid0(VALU_DEP_4) | instskip(SKIP_1) | instid1(VALU_DEP_4)
	v_dual_fmac_f32 v10, 0x3f5db3d7, v22 :: v_dual_add_f32 v7, v7, v27
	v_add_f32_e32 v22, v51, v44
	v_or_b32_e32 v19, v19, v4
	s_delay_alu instid0(VALU_DEP_1)
	v_lshlrev_b32_e32 v205, 3, v19
	v_fmamk_f32 v19, v21, 0x3f5db3d7, v9
	v_fmac_f32_e32 v9, 0xbf5db3d7, v21
	ds_store_b64 v205, v[9:10] offset:128
	v_add_f32_e32 v10, v31, v33
	ds_store_2addr_b64 v205, v[7:8], v[19:20] offset1:8
	v_sub_f32_e32 v20, v32, v35
	v_add_f32_e32 v9, v32, v35
	v_fma_f32 v10, -0.5, v10, v12
	v_add_f32_e32 v7, v12, v31
	s_delay_alu instid0(VALU_DEP_3) | instskip(NEXT) | instid1(VALU_DEP_3)
	v_fma_f32 v9, -0.5, v9, v11
	v_fmamk_f32 v12, v20, 0xbf5db3d7, v10
	v_fmac_f32_e32 v10, 0x3f5db3d7, v20
	s_delay_alu instid0(VALU_DEP_4) | instskip(SKIP_2) | instid1(VALU_DEP_2)
	v_add_f32_e32 v8, v7, v33
	v_add_f32_e32 v7, v11, v32
	v_lshrrev_b32_e32 v11, 3, v45
	v_dual_add_f32 v20, v52, v42 :: v_dual_add_f32 v7, v7, v35
	s_delay_alu instid0(VALU_DEP_2) | instskip(NEXT) | instid1(VALU_DEP_1)
	v_mul_u32_u24_e32 v11, 24, v11
	v_or_b32_e32 v11, v11, v4
	s_delay_alu instid0(VALU_DEP_1) | instskip(NEXT) | instid1(VALU_DEP_1)
	v_dual_sub_f32 v19, v31, v33 :: v_dual_lshlrev_b32 v206, 3, v11
	v_fmamk_f32 v11, v19, 0x3f5db3d7, v9
	v_fmac_f32_e32 v9, 0xbf5db3d7, v19
	v_sub_f32_e32 v19, v40, v43
	ds_store_2addr_b64 v206, v[7:8], v[11:12] offset1:8
	ds_store_b64 v206, v[9:10] offset:128
	v_add_f32_e32 v9, v37, v34
	v_dual_add_f32 v7, v14, v37 :: v_dual_add_f32 v10, v39, v36
	v_dual_sub_f32 v11, v37, v34 :: v_dual_sub_f32 v12, v39, v36
	s_delay_alu instid0(VALU_DEP_3) | instskip(NEXT) | instid1(VALU_DEP_3)
	v_fmac_f32_e32 v14, -0.5, v9
	v_dual_add_f32 v8, v7, v34 :: v_dual_add_f32 v7, v13, v39
	s_delay_alu instid0(VALU_DEP_4) | instskip(SKIP_1) | instid1(VALU_DEP_4)
	v_fma_f32 v13, -0.5, v10, v13
	v_lshrrev_b32_e32 v9, 3, v50
	v_fmamk_f32 v10, v12, 0xbf5db3d7, v14
	v_fmac_f32_e32 v14, 0x3f5db3d7, v12
	v_lshrrev_b32_e32 v12, 3, v49
	s_delay_alu instid0(VALU_DEP_4) | instskip(NEXT) | instid1(VALU_DEP_2)
	v_mul_u32_u24_e32 v9, 24, v9
	v_mul_u32_u24_e32 v12, 24, v12
	s_delay_alu instid0(VALU_DEP_2) | instskip(NEXT) | instid1(VALU_DEP_2)
	v_or_b32_e32 v9, v9, v4
	v_or_b32_e32 v12, v12, v4
	s_delay_alu instid0(VALU_DEP_2) | instskip(SKIP_1) | instid1(VALU_DEP_3)
	v_lshlrev_b32_e32 v207, 3, v9
	v_fmamk_f32 v9, v11, 0x3f5db3d7, v13
	v_dual_fmac_f32 v13, 0xbf5db3d7, v11 :: v_dual_lshlrev_b32 v208, 3, v12
	v_add_f32_e32 v7, v7, v36
	v_add_f32_e32 v11, v38, v41
	ds_store_2addr_b64 v207, v[7:8], v[9:10] offset1:8
	v_add_f32_e32 v7, v16, v38
	v_dual_add_f32 v10, v40, v43 :: v_dual_sub_f32 v9, v38, v41
	v_fma_f32 v11, -0.5, v11, v16
	s_delay_alu instid0(VALU_DEP_3) | instskip(SKIP_1) | instid1(VALU_DEP_4)
	v_add_f32_e32 v8, v7, v41
	v_add_f32_e32 v7, v15, v40
	v_fma_f32 v10, -0.5, v10, v15
	s_delay_alu instid0(VALU_DEP_1)
	v_dual_add_f32 v7, v7, v43 :: v_dual_fmamk_f32 v12, v9, 0x3f5db3d7, v10
	ds_store_b64 v207, v[13:14] offset:128
	v_dual_fmamk_f32 v13, v19, 0xbf5db3d7, v11 :: v_dual_add_f32 v14, v18, v52
	v_fmac_f32_e32 v10, 0xbf5db3d7, v9
	v_dual_fmac_f32 v18, -0.5, v20 :: v_dual_fmac_f32 v11, 0x3f5db3d7, v19
	ds_store_2addr_b64 v208, v[7:8], v[12:13] offset1:8
	v_lshrrev_b32_e32 v12, 3, v47
	v_lshrrev_b32_e32 v13, 3, v48
	v_mul_f32_e32 v8, v23, v3
	v_mul_f32_e32 v7, v24, v3
	s_delay_alu instid0(VALU_DEP_4) | instskip(NEXT) | instid1(VALU_DEP_4)
	v_mul_u32_u24_e32 v12, 24, v12
	v_mul_u32_u24_e32 v13, 24, v13
	s_delay_alu instid0(VALU_DEP_4) | instskip(NEXT) | instid1(VALU_DEP_3)
	v_fmac_f32_e32 v8, v24, v2
	v_or_b32_e32 v16, v12, v4
	s_delay_alu instid0(VALU_DEP_3)
	v_or_b32_e32 v4, v13, v4
	v_add_f32_e32 v13, v14, v42
	v_add_f32_e32 v14, v6, v54
	v_sub_f32_e32 v24, v54, v8
	v_dual_add_f32 v25, v54, v8 :: v_dual_add_f32 v12, v17, v51
	v_fma_f32 v17, -0.5, v22, v17
	s_delay_alu instid0(VALU_DEP_4) | instskip(NEXT) | instid1(VALU_DEP_3)
	v_dual_add_f32 v15, v14, v8 :: v_dual_add_f32 v8, v5, v53
	v_fmac_f32_e32 v6, -0.5, v25
	v_fma_f32 v7, v23, v2, -v7
	v_sub_f32_e32 v21, v52, v42
	v_sub_f32_e32 v23, v51, v44
	v_lshlrev_b32_e32 v210, 3, v16
	v_add_f32_e32 v12, v12, v44
	v_add_f32_e32 v14, v8, v7
	;; [unrolled: 1-line block ×3, first 2 shown]
	v_sub_f32_e32 v7, v53, v7
	s_delay_alu instid0(VALU_DEP_2) | instskip(SKIP_3) | instid1(VALU_DEP_3)
	v_fma_f32 v5, -0.5, v8, v5
	v_and_b32_e32 v8, 0xff, v171
	v_dual_fmamk_f32 v20, v23, 0xbf5db3d7, v18 :: v_dual_lshlrev_b32 v209, 3, v4
	v_dual_fmamk_f32 v19, v21, 0x3f5db3d7, v17 :: v_dual_fmac_f32 v18, 0x3f5db3d7, v23
	v_mul_lo_u16 v8, 0xab, v8
	v_dual_fmac_f32 v17, 0xbf5db3d7, v21 :: v_dual_fmamk_f32 v22, v7, 0xbf5db3d7, v6
	v_dual_fmamk_f32 v21, v24, 0x3f5db3d7, v5 :: v_dual_fmac_f32 v6, 0x3f5db3d7, v7
	s_delay_alu instid0(VALU_DEP_3)
	v_lshrrev_b16 v41, 12, v8
	v_fmac_f32_e32 v5, 0xbf5db3d7, v24
	ds_store_b64 v208, v[10:11] offset:128
	ds_store_2addr_b64 v210, v[12:13], v[19:20] offset1:8
	ds_store_b64 v210, v[17:18] offset:128
	ds_store_2addr_b64 v209, v[14:15], v[21:22] offset1:8
	ds_store_b64 v209, v[5:6] offset:128
	v_and_b32_e32 v10, 0xff, v46
	global_wb scope:SCOPE_SE
	s_wait_dscnt 0x0
	v_mul_lo_u16 v8, v41, 24
	s_barrier_signal -1
	s_barrier_wait -1
	v_mul_lo_u16 v10, 0xab, v10
	global_inv scope:SCOPE_SE
	v_sub_nc_u16 v8, v171, v8
	v_and_b32_e32 v41, 0xffff, v41
	v_lshrrev_b16 v40, 12, v10
	ds_load_2addr_b64 v[10:13], v80 offset0:80 offset1:136
	v_and_b32_e32 v42, 0xff, v8
	v_mul_u32_u24_e32 v41, 0xa8, v41
	v_mul_lo_u16 v14, v40, 24
	v_and_b32_e32 v40, 0xffff, v40
	s_delay_alu instid0(VALU_DEP_4) | instskip(NEXT) | instid1(VALU_DEP_3)
	v_mad_co_u64_u32 v[8:9], null, v42, 48, s[0:1]
	v_sub_nc_u16 v14, v46, v14
	s_delay_alu instid0(VALU_DEP_3)
	v_mul_u32_u24_e32 v40, 0xa8, v40
	s_clause 0x1
	global_load_b128 v[4:7], v[8:9], off offset:176
	global_load_b128 v[28:31], v[8:9], off offset:192
	s_wait_loadcnt_dscnt 0x100
	v_dual_mul_f32 v52, v10, v7 :: v_dual_and_b32 v43, 0xff, v14
	s_delay_alu instid0(VALU_DEP_1) | instskip(SKIP_4) | instid1(VALU_DEP_1)
	v_mad_co_u64_u32 v[18:19], null, v43, 48, s[0:1]
	s_clause 0x1
	global_load_b128 v[32:35], v[8:9], off offset:208
	global_load_b128 v[20:23], v[18:19], off offset:176
	v_mul_f32_e32 v14, v11, v7
	v_fma_f32 v53, v10, v6, -v14
	ds_load_2addr_b64 v[14:17], v81 offset0:160 offset1:216
	s_wait_loadcnt_dscnt 0x200
	v_dual_fmac_f32 v52, v11, v6 :: v_dual_mul_f32 v57, v14, v31
	s_wait_loadcnt 0x0
	s_delay_alu instid0(VALU_DEP_1) | instskip(SKIP_2) | instid1(VALU_DEP_3)
	v_dual_fmac_f32 v57, v15, v30 :: v_dual_mul_f32 v8, v13, v23
	v_mul_f32_e32 v55, v12, v23
	v_add_lshl_u32 v211, v41, v42, 3
	v_fma_f32 v54, v12, v22, -v8
	s_delay_alu instid0(VALU_DEP_3) | instskip(NEXT) | instid1(VALU_DEP_1)
	v_dual_fmac_f32 v55, v13, v22 :: v_dual_mul_f32 v8, v15, v31
	v_fma_f32 v56, v14, v30, -v8
	s_clause 0x1
	global_load_b128 v[12:15], v[18:19], off offset:192
	global_load_b128 v[8:11], v[18:19], off offset:208
	ds_load_2addr_b64 v[36:39], v83 offset0:96 offset1:152
	s_wait_loadcnt 0x1
	v_mul_f32_e32 v18, v17, v15
	v_mul_f32_e32 v59, v16, v15
	s_delay_alu instid0(VALU_DEP_2) | instskip(NEXT) | instid1(VALU_DEP_2)
	v_fma_f32 v58, v16, v14, -v18
	v_fmac_f32_e32 v59, v17, v14
	ds_load_2addr_b64 v[16:19], v82 offset0:112 offset1:168
	s_wait_dscnt 0x0
	v_mul_f32_e32 v24, v17, v35
	v_mul_f32_e32 v61, v16, v35
	s_wait_loadcnt 0x0
	v_mul_f32_e32 v63, v18, v11
	s_delay_alu instid0(VALU_DEP_3) | instskip(SKIP_1) | instid1(VALU_DEP_1)
	v_fma_f32 v60, v16, v34, -v24
	v_mul_f32_e32 v16, v19, v11
	v_fma_f32 v62, v18, v10, -v16
	v_dual_fmac_f32 v61, v17, v34 :: v_dual_and_b32 v16, 0xff, v45
	s_delay_alu instid0(VALU_DEP_1) | instskip(NEXT) | instid1(VALU_DEP_1)
	v_mul_lo_u16 v16, 0xab, v16
	v_lshrrev_b16 v64, 12, v16
	s_delay_alu instid0(VALU_DEP_1) | instskip(NEXT) | instid1(VALU_DEP_1)
	v_mul_lo_u16 v16, v64, 24
	v_sub_nc_u16 v16, v45, v16
	s_delay_alu instid0(VALU_DEP_1) | instskip(SKIP_1) | instid1(VALU_DEP_2)
	v_dual_mul_f32 v16, v37, v21 :: v_dual_and_b32 v65, 0xff, v16
	v_fmac_f32_e32 v63, v19, v10
	v_mad_co_u64_u32 v[48:49], null, v65, 48, s[0:1]
	s_delay_alu instid0(VALU_DEP_3)
	v_fma_f32 v66, v36, v20, -v16
	s_clause 0x1
	global_load_b128 v[16:19], v[48:49], off offset:176
	global_load_b128 v[24:27], v[48:49], off offset:192
	v_dual_mul_f32 v67, v36, v21 :: v_dual_add_f32 v104, v66, v62
	ds_load_b64 v[50:51], v169 offset:8960
	s_wait_loadcnt 0x1
	v_dual_fmac_f32 v67, v37, v20 :: v_dual_mul_f32 v36, v39, v17
	v_mul_f32_e32 v69, v38, v17
	s_delay_alu instid0(VALU_DEP_2) | instskip(NEXT) | instid1(VALU_DEP_2)
	v_fma_f32 v68, v38, v16, -v36
	v_fmac_f32_e32 v69, v39, v16
	ds_load_2addr_b64 v[36:39], v80 offset0:192 offset1:248
	s_wait_dscnt 0x0
	v_mul_f32_e32 v44, v39, v29
	v_mul_f32_e32 v71, v38, v29
	;; [unrolled: 1-line block ×3, first 2 shown]
	v_add_f32_e32 v108, v67, v63
	s_delay_alu instid0(VALU_DEP_4) | instskip(NEXT) | instid1(VALU_DEP_4)
	v_fma_f32 v70, v38, v28, -v44
	v_dual_mul_f32 v38, v37, v19 :: v_dual_fmac_f32 v71, v39, v28
	s_delay_alu instid0(VALU_DEP_2) | instskip(NEXT) | instid1(VALU_DEP_2)
	v_dual_fmac_f32 v73, v37, v18 :: v_dual_add_f32 v98, v70, v56
	v_fma_f32 v72, v36, v18, -v38
	ds_load_2addr_b64 v[36:39], v81 offset0:48 offset1:104
	s_wait_dscnt 0x0
	v_dual_sub_f32 v41, v56, v70 :: v_dual_mul_f32 v44, v37, v13
	v_mul_f32_e32 v75, v36, v13
	s_wait_loadcnt 0x0
	v_mul_f32_e32 v85, v38, v25
	s_delay_alu instid0(VALU_DEP_3) | instskip(NEXT) | instid1(VALU_DEP_3)
	v_fma_f32 v74, v36, v12, -v44
	v_dual_mul_f32 v36, v39, v25 :: v_dual_fmac_f32 v75, v37, v12
	s_delay_alu instid0(VALU_DEP_2) | instskip(NEXT) | instid1(VALU_DEP_2)
	v_dual_fmac_f32 v85, v39, v24 :: v_dual_add_f32 v106, v74, v58
	v_fma_f32 v84, v38, v24, -v36
	ds_load_2addr_b64 v[36:39], v79 offset0:16 offset1:72
	s_wait_dscnt 0x0
	v_mul_f32_e32 v44, v39, v33
	v_mul_f32_e32 v87, v38, v33
	;; [unrolled: 1-line block ×3, first 2 shown]
	s_delay_alu instid0(VALU_DEP_3) | instskip(SKIP_3) | instid1(VALU_DEP_2)
	v_fma_f32 v86, v38, v32, -v44
	ds_load_2addr_b64 v[44:47], v79 offset0:128 offset1:184
	v_dual_mul_f32 v38, v37, v27 :: v_dual_fmac_f32 v87, v39, v32
	v_fmac_f32_e32 v89, v37, v26
	v_fma_f32 v88, v36, v26, -v38
	s_delay_alu instid0(VALU_DEP_2) | instskip(NEXT) | instid1(VALU_DEP_2)
	v_add_f32_e32 v118, v85, v89
	v_add_f32_e32 v114, v84, v88
	s_wait_dscnt 0x0
	v_mul_f32_e32 v36, v45, v9
	v_mul_f32_e32 v91, v44, v9
	v_dual_add_f32 v97, v53, v86 :: v_dual_add_f32 v102, v71, v57
	v_sub_f32_e32 v53, v53, v86
	s_delay_alu instid0(VALU_DEP_4)
	v_fma_f32 v90, v44, v8, -v36
	global_load_b128 v[36:39], v[48:49], off offset:208
	v_fmac_f32_e32 v91, v45, v8
	v_sub_f32_e32 v42, v57, v71
	v_dual_add_f32 v86, v41, v53 :: v_dual_add_f32 v105, v54, v90
	s_wait_loadcnt 0x0
	v_mul_f32_e32 v44, v47, v37
	v_dual_mul_f32 v93, v46, v37 :: v_dual_add_f32 v110, v75, v59
	v_mul_f32_e32 v112, v51, v39
	s_delay_alu instid0(VALU_DEP_3) | instskip(NEXT) | instid1(VALU_DEP_3)
	v_fma_f32 v92, v46, v36, -v44
	v_fmac_f32_e32 v93, v47, v36
	ds_load_2addr_b64 v[44:47], v169 offset0:112 offset1:168
	v_fma_f32 v112, v50, v38, -v112
	v_mul_f32_e32 v50, v50, v39
	v_add_f32_e32 v101, v52, v87
	v_add_f32_e32 v113, v72, v92
	v_sub_f32_e32 v52, v52, v87
	s_delay_alu instid0(VALU_DEP_4) | instskip(NEXT) | instid1(VALU_DEP_1)
	v_dual_fmac_f32 v50, v51, v38 :: v_dual_add_f32 v51, v68, v112
	v_add_f32_e32 v116, v69, v50
	s_wait_dscnt 0x0
	v_mul_f32_e32 v48, v47, v5
	v_mul_f32_e32 v95, v46, v5
	s_delay_alu instid0(VALU_DEP_2) | instskip(NEXT) | instid1(VALU_DEP_2)
	v_fma_f32 v94, v46, v4, -v48
	v_fmac_f32_e32 v95, v47, v4
	s_delay_alu instid0(VALU_DEP_2) | instskip(NEXT) | instid1(VALU_DEP_2)
	v_add_f32_e32 v96, v94, v60
	v_add_f32_e32 v100, v95, v61
	;; [unrolled: 1-line block ×3, first 2 shown]
	v_dual_add_f32 v115, v113, v51 :: v_dual_sub_f32 v60, v94, v60
	s_delay_alu instid0(VALU_DEP_4) | instskip(NEXT) | instid1(VALU_DEP_4)
	v_add_f32_e32 v46, v97, v96
	v_sub_f32_e32 v70, v100, v102
	s_delay_alu instid0(VALU_DEP_3) | instskip(NEXT) | instid1(VALU_DEP_4)
	v_dual_sub_f32 v56, v96, v98 :: v_dual_add_f32 v115, v114, v115
	v_add_f32_e32 v86, v86, v60
	s_delay_alu instid0(VALU_DEP_4) | instskip(NEXT) | instid1(VALU_DEP_4)
	v_dual_add_f32 v99, v98, v46 :: v_dual_add_f32 v46, v101, v100
	v_mul_f32_e32 v70, 0x3f4a47b2, v70
	s_delay_alu instid0(VALU_DEP_4) | instskip(NEXT) | instid1(VALU_DEP_3)
	v_dual_add_f32 v44, v44, v115 :: v_dual_sub_f32 v57, v98, v97
	v_dual_sub_f32 v94, v60, v41 :: v_dual_add_f32 v103, v102, v46
	v_add_f32_e32 v46, v105, v104
	s_delay_alu instid0(VALU_DEP_1) | instskip(SKIP_1) | instid1(VALU_DEP_1)
	v_dual_mul_f32 v56, 0x3f4a47b2, v56 :: v_dual_add_f32 v107, v106, v46
	v_add_f32_e32 v46, v109, v108
	v_add_f32_e32 v111, v110, v46
	ds_load_2addr_b64 v[46:49], v169 offset1:56
	global_wb scope:SCOPE_SE
	s_wait_dscnt 0x0
	s_barrier_signal -1
	s_barrier_wait -1
	global_inv scope:SCOPE_SE
	v_add_f32_e32 v46, v46, v99
	v_add_f32_e32 v47, v47, v103
	v_dual_add_f32 v117, v73, v93 :: v_dual_add_f32 v48, v48, v107
	v_sub_f32_e32 v61, v95, v61
	v_sub_f32_e32 v95, v42, v52
	v_add_f32_e32 v49, v49, v111
	s_delay_alu instid0(VALU_DEP_4) | instskip(NEXT) | instid1(VALU_DEP_4)
	v_add_f32_e32 v167, v117, v116
	v_dual_fmamk_f32 v103, v103, 0xbf955555, v47 :: v_dual_sub_f32 v98, v61, v42
	s_delay_alu instid0(VALU_DEP_4) | instskip(SKIP_1) | instid1(VALU_DEP_4)
	v_mul_f32_e32 v95, 0xbf08b237, v95
	v_fmamk_f32 v99, v99, 0xbf955555, v46
	v_add_f32_e32 v167, v118, v167
	s_delay_alu instid0(VALU_DEP_3) | instskip(NEXT) | instid1(VALU_DEP_2)
	v_dual_fmamk_f32 v212, v98, 0x3eae86e6, v95 :: v_dual_sub_f32 v87, v41, v53
	v_add_f32_e32 v45, v45, v167
	v_sub_f32_e32 v71, v102, v101
	s_delay_alu instid0(VALU_DEP_3) | instskip(NEXT) | instid1(VALU_DEP_1)
	v_mul_f32_e32 v87, 0xbf08b237, v87
	v_fmamk_f32 v168, v94, 0x3eae86e6, v87
	s_delay_alu instid0(VALU_DEP_1) | instskip(NEXT) | instid1(VALU_DEP_1)
	v_dual_fmac_f32 v168, 0x3ee1c552, v86 :: v_dual_add_f32 v41, v42, v52
	v_add_f32_e32 v102, v41, v61
	s_delay_alu instid0(VALU_DEP_1) | instskip(SKIP_1) | instid1(VALU_DEP_1)
	v_fmac_f32_e32 v212, 0x3ee1c552, v102
	v_fmamk_f32 v41, v57, 0x3d64c772, v56
	v_add_f32_e32 v213, v41, v99
	v_fmamk_f32 v41, v71, 0x3d64c772, v70
	s_delay_alu instid0(VALU_DEP_1) | instskip(NEXT) | instid1(VALU_DEP_1)
	v_dual_add_f32 v214, v41, v103 :: v_dual_add_f32 v41, v212, v213
	v_sub_f32_e32 v42, v214, v168
	ds_store_2addr_b64 v211, v[46:47], v[41:42] offset1:24
	v_sub_f32_e32 v46, v53, v60
	v_sub_f32_e32 v41, v97, v96
	v_dual_sub_f32 v42, v101, v100 :: v_dual_sub_f32 v47, v52, v61
	v_mul_f32_e32 v52, 0x3d64c772, v57
	s_delay_alu instid0(VALU_DEP_4) | instskip(SKIP_1) | instid1(VALU_DEP_3)
	v_fma_f32 v53, 0x3f5ff5aa, v46, -v87
	v_mul_f32_e32 v46, 0x3f5ff5aa, v46
	v_fma_f32 v52, 0x3f3bfb3b, v41, -v52
	v_fma_f32 v41, 0xbf3bfb3b, v41, -v56
	s_delay_alu instid0(VALU_DEP_3) | instskip(SKIP_1) | instid1(VALU_DEP_4)
	v_fma_f32 v56, 0xbeae86e6, v94, -v46
	v_mul_f32_e32 v46, 0x3f5ff5aa, v47
	v_add_f32_e32 v52, v52, v99
	s_delay_alu instid0(VALU_DEP_3) | instskip(NEXT) | instid1(VALU_DEP_3)
	v_dual_add_f32 v61, v41, v99 :: v_dual_fmac_f32 v56, 0x3ee1c552, v86
	v_fma_f32 v60, 0xbeae86e6, v98, -v46
	v_mul_f32_e32 v46, 0x3d64c772, v71
	s_delay_alu instid0(VALU_DEP_2) | instskip(NEXT) | instid1(VALU_DEP_2)
	v_fmac_f32_e32 v60, 0x3ee1c552, v102
	v_fma_f32 v46, 0x3f3bfb3b, v42, -v46
	v_fma_f32 v42, 0xbf3bfb3b, v42, -v70
	s_delay_alu instid0(VALU_DEP_3) | instskip(NEXT) | instid1(VALU_DEP_3)
	v_add_f32_e32 v41, v60, v61
	v_add_f32_e32 v71, v46, v103
	s_delay_alu instid0(VALU_DEP_3) | instskip(NEXT) | instid1(VALU_DEP_1)
	v_add_f32_e32 v70, v42, v103
	v_sub_f32_e32 v42, v70, v56
	v_fma_f32 v57, 0x3f5ff5aa, v47, -v95
	v_mad_co_u64_u32 v[94:95], null, v171, 48, s[0:1]
	s_add_nc_u64 s[0:1], s[12:13], 0x24c0
	s_delay_alu instid0(VALU_DEP_2) | instskip(NEXT) | instid1(VALU_DEP_1)
	v_fmac_f32_e32 v57, 0x3ee1c552, v102
	v_dual_fmac_f32 v53, 0x3ee1c552, v86 :: v_dual_sub_f32 v46, v52, v57
	s_delay_alu instid0(VALU_DEP_1)
	v_add_f32_e32 v47, v53, v71
	ds_store_2addr_b64 v211, v[41:42], v[46:47] offset0:48 offset1:72
	v_sub_f32_e32 v46, v61, v60
	v_dual_sub_f32 v42, v71, v53 :: v_dual_add_f32 v41, v57, v52
	v_add_f32_e32 v47, v56, v70
	v_sub_f32_e32 v52, v104, v106
	ds_store_2addr_b64 v211, v[41:42], v[46:47] offset0:96 offset1:120
	v_dual_sub_f32 v41, v213, v212 :: v_dual_add_f32 v42, v168, v214
	v_add_lshl_u32 v212, v40, v43, 3
	v_dual_sub_f32 v40, v58, v74 :: v_dual_sub_f32 v43, v67, v63
	v_sub_f32_e32 v46, v54, v90
	ds_store_b64 v211, v[41:42] offset:1152
	v_dual_sub_f32 v42, v66, v62 :: v_dual_sub_f32 v47, v55, v91
	v_dual_sub_f32 v54, v108, v110 :: v_dual_sub_f32 v41, v59, v75
	v_dual_add_f32 v56, v40, v46 :: v_dual_sub_f32 v53, v106, v105
	s_delay_alu instid0(VALU_DEP_3) | instskip(NEXT) | instid1(VALU_DEP_3)
	v_dual_sub_f32 v57, v40, v46 :: v_dual_sub_f32 v58, v42, v40
	v_sub_f32_e32 v60, v43, v41
	v_add_f32_e32 v40, v41, v47
	v_dual_sub_f32 v59, v41, v47 :: v_dual_mul_f32 v52, 0x3f4a47b2, v52
	v_fmamk_f32 v63, v111, 0xbf955555, v49
	s_delay_alu instid0(VALU_DEP_3) | instskip(SKIP_1) | instid1(VALU_DEP_4)
	v_dual_fmamk_f32 v62, v107, 0xbf955555, v48 :: v_dual_add_f32 v61, v40, v43
	v_mul_f32_e32 v54, 0x3f4a47b2, v54
	v_dual_fmamk_f32 v40, v53, 0x3d64c772, v52 :: v_dual_sub_f32 v55, v110, v109
	v_dual_add_f32 v56, v56, v42 :: v_dual_mul_f32 v57, 0xbf08b237, v57
	v_sub_f32_e32 v42, v46, v42
	s_delay_alu instid0(VALU_DEP_3) | instskip(NEXT) | instid1(VALU_DEP_4)
	v_dual_add_f32 v70, v40, v62 :: v_dual_mul_f32 v59, 0xbf08b237, v59
	v_fmamk_f32 v40, v55, 0x3d64c772, v54
	s_delay_alu instid0(VALU_DEP_4) | instskip(SKIP_1) | instid1(VALU_DEP_4)
	v_dual_fmamk_f32 v66, v58, 0x3eae86e6, v57 :: v_dual_sub_f32 v43, v47, v43
	v_mul_f32_e32 v46, 0x3d64c772, v53
	v_fmamk_f32 v67, v60, 0x3eae86e6, v59
	s_delay_alu instid0(VALU_DEP_3) | instskip(SKIP_2) | instid1(VALU_DEP_4)
	v_dual_add_f32 v71, v40, v63 :: v_dual_fmac_f32 v66, 0x3ee1c552, v56
	v_fma_f32 v47, 0x3f5ff5aa, v42, -v57
	v_mul_f32_e32 v42, 0x3f5ff5aa, v42
	v_fmac_f32_e32 v67, 0x3ee1c552, v61
	s_delay_alu instid0(VALU_DEP_4) | instskip(NEXT) | instid1(VALU_DEP_2)
	v_sub_f32_e32 v41, v71, v66
	v_add_f32_e32 v40, v67, v70
	ds_store_2addr_b64 v212, v[48:49], v[40:41] offset1:24
	v_sub_f32_e32 v40, v105, v104
	v_fma_f32 v48, 0xbeae86e6, v58, -v42
	v_fma_f32 v49, 0x3f5ff5aa, v43, -v59
	v_sub_f32_e32 v41, v109, v108
	v_fmamk_f32 v59, v115, 0xbf955555, v44
	v_fma_f32 v46, 0x3f3bfb3b, v40, -v46
	v_fma_f32 v40, 0xbf3bfb3b, v40, -v52
	v_mul_f32_e32 v42, 0x3f5ff5aa, v43
	v_dual_fmac_f32 v48, 0x3ee1c552, v56 :: v_dual_fmac_f32 v49, 0x3ee1c552, v61
	s_delay_alu instid0(VALU_DEP_3) | instskip(NEXT) | instid1(VALU_DEP_3)
	v_add_f32_e32 v53, v40, v62
	v_fma_f32 v52, 0xbeae86e6, v60, -v42
	v_mul_f32_e32 v42, 0x3d64c772, v55
	v_fmac_f32_e32 v47, 0x3ee1c552, v56
	v_fmamk_f32 v60, v167, 0xbf955555, v45
	s_delay_alu instid0(VALU_DEP_4) | instskip(NEXT) | instid1(VALU_DEP_4)
	v_fmac_f32_e32 v52, 0x3ee1c552, v61
	v_fma_f32 v42, 0x3f3bfb3b, v41, -v42
	v_fma_f32 v41, 0xbf3bfb3b, v41, -v54
	s_delay_alu instid0(VALU_DEP_2) | instskip(SKIP_1) | instid1(VALU_DEP_3)
	v_add_f32_e32 v55, v42, v63
	v_add_f32_e32 v46, v46, v62
	;; [unrolled: 1-line block ×3, first 2 shown]
	s_delay_alu instid0(VALU_DEP_3) | instskip(NEXT) | instid1(VALU_DEP_3)
	v_dual_add_f32 v40, v52, v53 :: v_dual_add_f32 v43, v47, v55
	v_sub_f32_e32 v42, v46, v49
	s_delay_alu instid0(VALU_DEP_3)
	v_sub_f32_e32 v41, v54, v48
	ds_store_2addr_b64 v212, v[40:41], v[42:43] offset0:48 offset1:72
	v_dual_add_f32 v40, v49, v46 :: v_dual_sub_f32 v41, v55, v47
	v_sub_f32_e32 v46, v72, v92
	v_dual_sub_f32 v42, v53, v52 :: v_dual_sub_f32 v49, v114, v113
	v_add_f32_e32 v43, v48, v54
	v_sub_f32_e32 v47, v73, v93
	ds_store_2addr_b64 v212, v[40:41], v[42:43] offset0:96 offset1:120
	v_sub_f32_e32 v40, v70, v67
	v_add_f32_e32 v41, v66, v71
	v_sub_f32_e32 v43, v69, v50
	ds_store_b64 v212, v[40:41] offset:1152
	v_dual_sub_f32 v41, v89, v85 :: v_dual_and_b32 v40, 0xffff, v64
	v_sub_f32_e32 v42, v68, v112
	s_delay_alu instid0(VALU_DEP_2) | instskip(NEXT) | instid1(VALU_DEP_3)
	v_mul_u32_u24_e32 v40, 0xa8, v40
	v_sub_f32_e32 v57, v43, v41
	s_delay_alu instid0(VALU_DEP_2) | instskip(SKIP_1) | instid1(VALU_DEP_1)
	v_add_lshl_u32 v213, v40, v65, 3
	v_sub_f32_e32 v40, v88, v84
	v_dual_sub_f32 v48, v51, v114 :: v_dual_sub_f32 v55, v42, v40
	s_delay_alu instid0(VALU_DEP_1) | instskip(NEXT) | instid1(VALU_DEP_1)
	v_dual_add_f32 v53, v40, v46 :: v_dual_mul_f32 v48, 0x3f4a47b2, v48
	v_add_f32_e32 v53, v53, v42
	v_sub_f32_e32 v54, v40, v46
	v_sub_f32_e32 v56, v41, v47
	;; [unrolled: 1-line block ×3, first 2 shown]
	s_delay_alu instid0(VALU_DEP_3) | instskip(SKIP_1) | instid1(VALU_DEP_4)
	v_mul_f32_e32 v54, 0xbf08b237, v54
	v_sub_f32_e32 v50, v116, v118
	v_mul_f32_e32 v56, 0xbf08b237, v56
	s_delay_alu instid0(VALU_DEP_3) | instskip(NEXT) | instid1(VALU_DEP_3)
	v_fmamk_f32 v61, v55, 0x3eae86e6, v54
	v_mul_f32_e32 v50, 0x3f4a47b2, v50
	s_delay_alu instid0(VALU_DEP_3) | instskip(NEXT) | instid1(VALU_DEP_3)
	v_fmamk_f32 v62, v57, 0x3eae86e6, v56
	v_dual_fmac_f32 v61, 0x3ee1c552, v53 :: v_dual_add_f32 v40, v41, v47
	s_delay_alu instid0(VALU_DEP_1) | instskip(SKIP_1) | instid1(VALU_DEP_1)
	v_add_f32_e32 v58, v40, v43
	v_dual_sub_f32 v43, v47, v43 :: v_dual_fmamk_f32 v40, v49, 0x3d64c772, v48
	v_dual_sub_f32 v52, v118, v117 :: v_dual_add_f32 v63, v40, v59
	s_delay_alu instid0(VALU_DEP_1) | instskip(NEXT) | instid1(VALU_DEP_1)
	v_fmamk_f32 v40, v52, 0x3d64c772, v50
	v_add_f32_e32 v64, v40, v60
	s_delay_alu instid0(VALU_DEP_1) | instskip(NEXT) | instid1(VALU_DEP_1)
	v_dual_fmac_f32 v62, 0x3ee1c552, v58 :: v_dual_sub_f32 v41, v64, v61
	v_add_f32_e32 v40, v62, v63
	ds_store_2addr_b64 v213, v[44:45], v[40:41] offset1:24
	v_sub_f32_e32 v40, v113, v51
	v_dual_mul_f32 v44, 0x3d64c772, v49 :: v_dual_sub_f32 v41, v117, v116
	s_delay_alu instid0(VALU_DEP_1) | instskip(SKIP_1) | instid1(VALU_DEP_2)
	v_fma_f32 v44, 0x3f3bfb3b, v40, -v44
	v_fma_f32 v40, 0xbf3bfb3b, v40, -v48
	v_add_f32_e32 v44, v44, v59
	s_delay_alu instid0(VALU_DEP_2) | instskip(SKIP_2) | instid1(VALU_DEP_2)
	v_add_f32_e32 v49, v40, v59
	v_fma_f32 v45, 0x3f5ff5aa, v42, -v54
	v_mul_f32_e32 v42, 0x3f5ff5aa, v42
	v_fmac_f32_e32 v45, 0x3ee1c552, v53
	s_delay_alu instid0(VALU_DEP_2) | instskip(SKIP_1) | instid1(VALU_DEP_2)
	v_fma_f32 v46, 0xbeae86e6, v55, -v42
	v_mul_f32_e32 v42, 0x3f5ff5aa, v43
	v_fmac_f32_e32 v46, 0x3ee1c552, v53
	s_delay_alu instid0(VALU_DEP_2) | instskip(SKIP_1) | instid1(VALU_DEP_2)
	v_fma_f32 v48, 0xbeae86e6, v57, -v42
	v_mul_f32_e32 v42, 0x3d64c772, v52
	v_fmac_f32_e32 v48, 0x3ee1c552, v58
	s_delay_alu instid0(VALU_DEP_2) | instskip(NEXT) | instid1(VALU_DEP_1)
	v_fma_f32 v42, 0x3f3bfb3b, v41, -v42
	v_dual_add_f32 v40, v48, v49 :: v_dual_add_f32 v51, v42, v60
	v_fma_f32 v41, 0xbf3bfb3b, v41, -v50
	s_delay_alu instid0(VALU_DEP_1) | instskip(NEXT) | instid1(VALU_DEP_1)
	v_add_f32_e32 v50, v41, v60
	v_sub_f32_e32 v41, v50, v46
	v_fma_f32 v47, 0x3f5ff5aa, v43, -v56
	v_add_f32_e32 v43, v45, v51
	s_delay_alu instid0(VALU_DEP_2) | instskip(NEXT) | instid1(VALU_DEP_1)
	v_fmac_f32_e32 v47, 0x3ee1c552, v58
	v_sub_f32_e32 v42, v44, v47
	ds_store_2addr_b64 v213, v[40:41], v[42:43] offset0:48 offset1:72
	v_add_f32_e32 v40, v47, v44
	v_dual_sub_f32 v41, v51, v45 :: v_dual_sub_f32 v42, v49, v48
	v_add_f32_e32 v43, v46, v50
	ds_store_2addr_b64 v213, v[40:41], v[42:43] offset0:96 offset1:120
	v_dual_add_f32 v41, v61, v64 :: v_dual_sub_f32 v40, v63, v62
	ds_store_b64 v213, v[40:41] offset:1152
	global_wb scope:SCOPE_SE
	s_wait_dscnt 0x0
	s_barrier_signal -1
	s_barrier_wait -1
	global_inv scope:SCOPE_SE
	s_clause 0x1
	global_load_b128 v[40:43], v[94:95], off offset:1328
	global_load_b128 v[64:67], v[94:95], off offset:1344
	ds_load_2addr_b64 v[44:47], v80 offset0:80 offset1:136
	s_wait_loadcnt_dscnt 0x100
	v_mul_f32_e32 v48, v45, v43
	v_mul_f32_e32 v115, v44, v43
	s_delay_alu instid0(VALU_DEP_2)
	v_fma_f32 v114, v44, v42, -v48
	s_clause 0x1
	global_load_b128 v[48:51], v[94:95], off offset:4016
	global_load_b128 v[68:71], v[94:95], off offset:1360
	ds_load_2addr_b64 v[52:55], v81 offset0:160 offset1:216
	v_fmac_f32_e32 v115, v45, v42
	s_wait_loadcnt_dscnt 0x200
	v_mul_f32_e32 v117, v52, v67
	s_wait_loadcnt 0x1
	s_delay_alu instid0(VALU_DEP_1) | instskip(SKIP_1) | instid1(VALU_DEP_2)
	v_dual_fmac_f32 v117, v53, v66 :: v_dual_mul_f32 v44, v47, v51
	v_mul_f32_e32 v93, v46, v51
	v_fma_f32 v92, v46, v50, -v44
	s_delay_alu instid0(VALU_DEP_2) | instskip(NEXT) | instid1(VALU_DEP_1)
	v_dual_mul_f32 v44, v53, v67 :: v_dual_fmac_f32 v93, v47, v50
	v_fma_f32 v116, v52, v66, -v44
	s_clause 0x1
	global_load_b128 v[60:63], v[94:95], off offset:4032
	global_load_b128 v[44:47], v[94:95], off offset:4048
	ds_load_2addr_b64 v[72:75], v83 offset0:96 offset1:152
	s_wait_dscnt 0x0
	v_mul_f32_e32 v101, v72, v49
	s_wait_loadcnt 0x1
	s_delay_alu instid0(VALU_DEP_1) | instskip(SKIP_1) | instid1(VALU_DEP_2)
	v_dual_fmac_f32 v101, v73, v48 :: v_dual_mul_f32 v52, v55, v63
	v_mul_f32_e32 v97, v54, v63
	v_fma_f32 v96, v54, v62, -v52
	s_delay_alu instid0(VALU_DEP_2)
	v_fmac_f32_e32 v97, v55, v62
	ds_load_2addr_b64 v[52:55], v82 offset0:112 offset1:168
	s_wait_dscnt 0x0
	v_mul_f32_e32 v56, v53, v71
	v_mul_f32_e32 v167, v52, v71
	s_wait_loadcnt 0x0
	v_mul_f32_e32 v99, v54, v47
	s_delay_alu instid0(VALU_DEP_3) | instskip(NEXT) | instid1(VALU_DEP_3)
	v_fma_f32 v118, v52, v70, -v56
	v_dual_mul_f32 v52, v55, v47 :: v_dual_fmac_f32 v167, v53, v70
	s_delay_alu instid0(VALU_DEP_3) | instskip(NEXT) | instid1(VALU_DEP_2)
	v_fmac_f32_e32 v99, v55, v46
	v_fma_f32 v98, v54, v46, -v52
	v_mul_f32_e32 v52, v73, v49
	s_delay_alu instid0(VALU_DEP_3) | instskip(SKIP_1) | instid1(VALU_DEP_3)
	v_add_f32_e32 v231, v101, v99
	v_sub_f32_e32 v99, v101, v99
	v_fma_f32 v100, v72, v48, -v52
	s_clause 0x1
	global_load_b128 v[52:55], v[94:95], off offset:6704
	global_load_b128 v[56:59], v[94:95], off offset:6720
	ds_load_2addr_b64 v[105:108], v79 offset0:128 offset1:184
	ds_load_b64 v[112:113], v169 offset:8960
	v_add_f32_e32 v227, v100, v98
	v_sub_f32_e32 v98, v100, v98
	s_wait_loadcnt 0x1
	v_mul_f32_e32 v72, v75, v53
	v_mul_f32_e32 v85, v74, v53
	s_delay_alu instid0(VALU_DEP_2) | instskip(NEXT) | instid1(VALU_DEP_2)
	v_fma_f32 v84, v74, v52, -v72
	v_fmac_f32_e32 v85, v75, v52
	ds_load_2addr_b64 v[72:75], v80 offset0:192 offset1:248
	s_wait_dscnt 0x0
	v_mul_f32_e32 v86, v75, v65
	v_dual_mul_f32 v214, v74, v65 :: v_dual_mul_f32 v87, v72, v55
	s_delay_alu instid0(VALU_DEP_2) | instskip(SKIP_1) | instid1(VALU_DEP_3)
	v_fma_f32 v168, v74, v64, -v86
	v_mul_f32_e32 v74, v73, v55
	v_dual_fmac_f32 v214, v75, v64 :: v_dual_fmac_f32 v87, v73, v54
	s_delay_alu instid0(VALU_DEP_3) | instskip(NEXT) | instid1(VALU_DEP_3)
	v_add_f32_e32 v221, v168, v116
	v_fma_f32 v86, v72, v54, -v74
	ds_load_2addr_b64 v[72:75], v81 offset0:48 offset1:104
	v_sub_f32_e32 v116, v116, v168
	s_wait_dscnt 0x0
	v_mul_f32_e32 v88, v73, v61
	v_mul_f32_e32 v103, v72, v61
	s_wait_loadcnt 0x0
	v_mul_f32_e32 v89, v74, v57
	s_delay_alu instid0(VALU_DEP_3) | instskip(NEXT) | instid1(VALU_DEP_3)
	v_fma_f32 v102, v72, v60, -v88
	v_dual_mul_f32 v72, v75, v57 :: v_dual_fmac_f32 v103, v73, v60
	s_delay_alu instid0(VALU_DEP_3) | instskip(NEXT) | instid1(VALU_DEP_3)
	v_fmac_f32_e32 v89, v75, v56
	v_add_f32_e32 v229, v102, v96
	s_delay_alu instid0(VALU_DEP_3)
	v_fma_f32 v88, v74, v56, -v72
	ds_load_2addr_b64 v[72:75], v79 offset0:16 offset1:72
	v_add_f32_e32 v233, v103, v97
	s_wait_dscnt 0x0
	v_dual_sub_f32 v101, v97, v103 :: v_dual_mul_f32 v90, v75, v69
	v_dual_mul_f32 v216, v74, v69 :: v_dual_mul_f32 v91, v72, v59
	s_delay_alu instid0(VALU_DEP_2) | instskip(SKIP_1) | instid1(VALU_DEP_3)
	v_fma_f32 v215, v74, v68, -v90
	v_mul_f32_e32 v74, v73, v59
	v_fmac_f32_e32 v91, v73, v58
	s_delay_alu instid0(VALU_DEP_2) | instskip(SKIP_2) | instid1(VALU_DEP_4)
	v_fma_f32 v90, v72, v58, -v74
	v_mul_f32_e32 v72, v106, v45
	v_add_f32_e32 v220, v114, v215
	v_add_f32_e32 v243, v89, v91
	s_delay_alu instid0(VALU_DEP_4) | instskip(NEXT) | instid1(VALU_DEP_4)
	v_add_f32_e32 v239, v88, v90
	v_fma_f32 v104, v105, v44, -v72
	v_dual_mul_f32 v105, v105, v45 :: v_dual_fmac_f32 v216, v75, v68
	v_add_f32_e32 v225, v214, v117
	global_load_b128 v[72:75], v[94:95], off offset:6736
	v_dual_add_f32 v228, v92, v104 :: v_dual_sub_f32 v117, v117, v214
	v_fmac_f32_e32 v105, v106, v44
	v_sub_f32_e32 v214, v221, v220
	v_add_f32_e32 v224, v115, v216
	v_sub_f32_e32 v92, v92, v104
	s_wait_loadcnt 0x0
	v_dual_sub_f32 v103, v229, v228 :: v_dual_mul_f32 v94, v108, v73
	v_mul_f32_e32 v95, v107, v73
	v_mul_f32_e32 v235, v113, v75
	s_delay_alu instid0(VALU_DEP_3) | instskip(NEXT) | instid1(VALU_DEP_3)
	v_fma_f32 v94, v107, v72, -v94
	v_fmac_f32_e32 v95, v108, v72
	ds_load_2addr_b64 v[106:109], v169 offset0:112 offset1:168
	v_fma_f32 v235, v112, v74, -v235
	s_delay_alu instid0(VALU_DEP_1) | instskip(SKIP_3) | instid1(VALU_DEP_2)
	v_add_f32_e32 v237, v84, v235
	s_wait_dscnt 0x0
	v_mul_f32_e32 v218, v108, v41
	v_mul_f32_e32 v110, v109, v41
	v_fmac_f32_e32 v218, v109, v40
	s_delay_alu instid0(VALU_DEP_2) | instskip(NEXT) | instid1(VALU_DEP_2)
	v_fma_f32 v217, v108, v40, -v110
	v_add_f32_e32 v223, v218, v167
	s_delay_alu instid0(VALU_DEP_2) | instskip(SKIP_2) | instid1(VALU_DEP_3)
	v_dual_add_f32 v219, v217, v118 :: v_dual_mul_f32 v236, v112, v75
	v_add_f32_e32 v238, v86, v94
	v_dual_sub_f32 v118, v217, v118 :: v_dual_sub_f32 v167, v218, v167
	v_sub_f32_e32 v168, v220, v219
	s_delay_alu instid0(VALU_DEP_4) | instskip(SKIP_3) | instid1(VALU_DEP_4)
	v_fmac_f32_e32 v236, v113, v74
	v_dual_add_f32 v108, v220, v219 :: v_dual_sub_f32 v219, v219, v221
	v_sub_f32_e32 v113, v115, v216
	v_sub_f32_e32 v216, v225, v224
	v_add_f32_e32 v241, v85, v236
	s_delay_alu instid0(VALU_DEP_4) | instskip(SKIP_4) | instid1(VALU_DEP_4)
	v_dual_add_f32 v222, v221, v108 :: v_dual_sub_f32 v221, v223, v225
	v_add_f32_e32 v112, v238, v237
	v_add_f32_e32 v242, v87, v95
	v_sub_f32_e32 v100, v96, v102
	v_dual_sub_f32 v218, v117, v113 :: v_dual_sub_f32 v87, v87, v95
	v_add_f32_e32 v240, v239, v112
	s_delay_alu instid0(VALU_DEP_4) | instskip(NEXT) | instid1(VALU_DEP_4)
	v_add_f32_e32 v112, v242, v241
	v_add_f32_e32 v96, v100, v92
	v_dual_sub_f32 v220, v113, v167 :: v_dual_sub_f32 v97, v100, v92
	v_mul_f32_e32 v218, 0xbf08b237, v218
	s_delay_alu instid0(VALU_DEP_4) | instskip(SKIP_3) | instid1(VALU_DEP_4)
	v_add_f32_e32 v244, v243, v112
	v_add_f32_e32 v108, v224, v223
	v_sub_f32_e32 v112, v114, v215
	v_dual_add_f32 v232, v93, v105 :: v_dual_sub_f32 v215, v224, v223
	v_add_f32_e32 v107, v107, v244
	s_delay_alu instid0(VALU_DEP_4)
	v_add_f32_e32 v226, v225, v108
	v_add_f32_e32 v108, v228, v227
	v_sub_f32_e32 v115, v116, v112
	v_add_f32_e32 v114, v116, v112
	v_sub_f32_e32 v217, v112, v118
	v_sub_f32_e32 v93, v93, v105
	v_add_f32_e32 v230, v229, v108
	v_add_f32_e32 v108, v232, v231
	v_mul_f32_e32 v246, 0xbf08b237, v115
	v_add_f32_e32 v224, v114, v118
	v_sub_f32_e32 v118, v118, v116
	v_mul_f32_e32 v116, 0x3f5ff5aa, v217
	v_sub_f32_e32 v223, v167, v117
	v_fma_f32 v115, 0x3f5ff5aa, v217, -v246
	v_mul_f32_e32 v217, 0x3f4a47b2, v219
	v_mul_f32_e32 v219, 0x3f4a47b2, v221
	v_dual_add_f32 v112, v117, v113 :: v_dual_mul_f32 v113, 0x3d64c772, v216
	v_add_f32_e32 v234, v233, v108
	ds_load_2addr_b64 v[108:111], v169 offset1:56
	v_fmac_f32_e32 v115, 0x3ee1c552, v224
	v_dual_add_f32 v245, v112, v167 :: v_dual_mul_f32 v112, 0x3d64c772, v214
	v_mul_f32_e32 v117, 0x3f5ff5aa, v220
	v_sub_f32_e32 v105, v233, v232
	v_fma_f32 v114, 0x3f5ff5aa, v220, -v218
	v_fma_f32 v220, 0xbeae86e6, v118, -v116
	;; [unrolled: 1-line block ×7, first 2 shown]
	s_delay_alu instid0(VALU_DEP_4)
	v_dual_fmac_f32 v220, 0x3ee1c552, v224 :: v_dual_fmac_f32 v167, 0x3ee1c552, v245
	v_fmamk_f32 v118, v118, 0x3eae86e6, v246
	v_fmac_f32_e32 v114, 0x3ee1c552, v245
	v_sub_f32_e32 v104, v232, v231
	v_sub_f32_e32 v102, v228, v227
	;; [unrolled: 1-line block ×3, first 2 shown]
	s_wait_dscnt 0x0
	v_add_f32_e32 v108, v108, v222
	v_dual_add_f32 v109, v109, v226 :: v_dual_fmac_f32 v118, 0x3ee1c552, v224
	s_delay_alu instid0(VALU_DEP_2) | instskip(NEXT) | instid1(VALU_DEP_1)
	v_dual_add_f32 v111, v111, v234 :: v_dual_fmamk_f32 v222, v222, 0xbf955555, v108
	v_dual_fmamk_f32 v226, v226, 0xbf955555, v109 :: v_dual_add_f32 v247, v112, v222
	v_add_f32_e32 v106, v106, v240
	v_add_f32_e32 v168, v116, v222
	s_delay_alu instid0(VALU_DEP_3)
	v_add_f32_e32 v215, v117, v226
	v_add_f32_e32 v248, v113, v226
	;; [unrolled: 1-line block ×3, first 2 shown]
	v_sub_f32_e32 v112, v247, v114
	v_add_f32_e32 v116, v167, v168
	v_sub_f32_e32 v117, v215, v220
	v_sub_f32_e32 v167, v168, v167
	v_add_f32_e32 v168, v220, v215
	v_fmamk_f32 v215, v216, 0x3d64c772, v219
	v_dual_fmamk_f32 v214, v214, 0x3d64c772, v217 :: v_dual_add_f32 v113, v115, v248
	v_add_f32_e32 v114, v114, v247
	v_sub_f32_e32 v115, v248, v115
	s_delay_alu instid0(VALU_DEP_4) | instskip(NEXT) | instid1(VALU_DEP_4)
	v_add_f32_e32 v217, v215, v226
	v_add_f32_e32 v216, v214, v222
	s_delay_alu instid0(VALU_DEP_2) | instskip(SKIP_3) | instid1(VALU_DEP_1)
	v_sub_f32_e32 v215, v217, v118
	v_add_f32_e32 v217, v118, v217
	v_sub_f32_e32 v118, v98, v100
	v_fmamk_f32 v218, v223, 0x3eae86e6, v218
	v_fmac_f32_e32 v218, 0x3ee1c552, v245
	s_delay_alu instid0(VALU_DEP_1)
	v_add_f32_e32 v214, v218, v216
	v_sub_f32_e32 v216, v216, v218
	ds_store_b64 v169, v[214:215] offset:1344
	ds_store_b64 v169, v[116:117] offset:2688
	;; [unrolled: 1-line block ×6, first 2 shown]
	ds_store_2addr_b64 v169, v[108:109], v[110:111] offset1:56
	v_fmamk_f32 v108, v230, 0xbf955555, v110
	v_dual_fmamk_f32 v109, v234, 0xbf955555, v111 :: v_dual_sub_f32 v110, v92, v98
	v_add_f32_e32 v92, v101, v93
	v_sub_f32_e32 v111, v101, v93
	v_dual_sub_f32 v112, v93, v99 :: v_dual_mul_f32 v115, 0xbf08b237, v97
	v_mul_f32_e32 v93, 0x3d64c772, v105
	v_add_f32_e32 v113, v96, v98
	v_add_f32_e32 v114, v92, v99
	v_mul_f32_e32 v111, 0xbf08b237, v111
	v_fma_f32 v97, 0x3f5ff5aa, v110, -v115
	v_fma_f32 v93, 0x3f3bfb3b, v104, -v93
	v_dual_mul_f32 v92, 0x3d64c772, v103 :: v_dual_sub_f32 v167, v99, v101
	v_fmamk_f32 v101, v118, 0x3eae86e6, v115
	s_delay_alu instid0(VALU_DEP_4) | instskip(NEXT) | instid1(VALU_DEP_4)
	v_fmac_f32_e32 v97, 0x3ee1c552, v113
	v_add_f32_e32 v117, v93, v109
	s_delay_alu instid0(VALU_DEP_4) | instskip(SKIP_2) | instid1(VALU_DEP_4)
	v_fma_f32 v92, 0x3f3bfb3b, v102, -v92
	v_fma_f32 v96, 0x3f5ff5aa, v112, -v111
	v_fmac_f32_e32 v101, 0x3ee1c552, v113
	v_dual_fmamk_f32 v100, v167, 0x3eae86e6, v111 :: v_dual_add_f32 v93, v97, v117
	v_sub_f32_e32 v97, v117, v97
	s_delay_alu instid0(VALU_DEP_4) | instskip(NEXT) | instid1(VALU_DEP_3)
	v_dual_sub_f32 v117, v231, v233 :: v_dual_fmac_f32 v96, 0x3ee1c552, v114
	v_fmac_f32_e32 v100, 0x3ee1c552, v114
	s_delay_alu instid0(VALU_DEP_2) | instskip(NEXT) | instid1(VALU_DEP_1)
	v_mul_f32_e32 v117, 0x3f4a47b2, v117
	v_fmamk_f32 v99, v105, 0x3d64c772, v117
	s_delay_alu instid0(VALU_DEP_1) | instskip(NEXT) | instid1(VALU_DEP_1)
	v_add_f32_e32 v105, v99, v109
	v_sub_f32_e32 v99, v105, v101
	v_dual_add_f32 v101, v101, v105 :: v_dual_add_f32 v116, v92, v108
	s_delay_alu instid0(VALU_DEP_1) | instskip(SKIP_2) | instid1(VALU_DEP_1)
	v_sub_f32_e32 v92, v116, v96
	v_add_f32_e32 v96, v96, v116
	v_sub_f32_e32 v116, v227, v229
	v_mul_f32_e32 v116, 0x3f4a47b2, v116
	s_delay_alu instid0(VALU_DEP_1) | instskip(SKIP_1) | instid1(VALU_DEP_2)
	v_fmamk_f32 v98, v103, 0x3d64c772, v116
	v_fma_f32 v102, 0xbf3bfb3b, v102, -v116
	v_add_f32_e32 v103, v98, v108
	s_delay_alu instid0(VALU_DEP_1) | instskip(SKIP_1) | instid1(VALU_DEP_1)
	v_add_f32_e32 v98, v100, v103
	v_dual_sub_f32 v100, v103, v100 :: v_dual_mul_f32 v103, 0x3f5ff5aa, v110
	v_fma_f32 v105, 0xbeae86e6, v118, -v103
	v_mul_f32_e32 v103, 0x3f5ff5aa, v112
	s_delay_alu instid0(VALU_DEP_2) | instskip(NEXT) | instid1(VALU_DEP_2)
	v_fmac_f32_e32 v105, 0x3ee1c552, v113
	v_fma_f32 v110, 0xbeae86e6, v167, -v103
	v_fma_f32 v103, 0xbf3bfb3b, v104, -v117
	v_add_f32_e32 v104, v102, v108
	s_delay_alu instid0(VALU_DEP_3) | instskip(NEXT) | instid1(VALU_DEP_3)
	v_fmac_f32_e32 v110, 0x3ee1c552, v114
	v_add_f32_e32 v108, v103, v109
	s_delay_alu instid0(VALU_DEP_1)
	v_dual_sub_f32 v102, v104, v110 :: v_dual_add_f32 v103, v105, v108
	v_dual_add_f32 v104, v110, v104 :: v_dual_sub_f32 v105, v108, v105
	ds_store_b64 v169, v[96:97] offset:5824
	ds_store_b64 v169, v[102:103] offset:7168
	ds_store_b64 v169, v[100:101] offset:8512
	ds_store_b64 v169, v[92:93] offset:4480
	ds_store_b64 v169, v[104:105] offset:3136
	v_sub_f32_e32 v97, v85, v236
	v_dual_sub_f32 v85, v91, v89 :: v_dual_sub_f32 v96, v84, v235
	v_sub_f32_e32 v84, v90, v88
	v_dual_sub_f32 v88, v237, v239 :: v_dual_sub_f32 v89, v239, v238
	s_delay_alu instid0(VALU_DEP_3) | instskip(SKIP_1) | instid1(VALU_DEP_4)
	v_sub_f32_e32 v101, v85, v87
	v_sub_f32_e32 v102, v97, v85
	v_add_f32_e32 v94, v84, v86
	v_sub_f32_e32 v95, v84, v86
	v_sub_f32_e32 v100, v96, v84
	v_dual_add_f32 v84, v85, v87 :: v_dual_mul_f32 v101, 0xbf08b237, v101
	v_sub_f32_e32 v90, v241, v243
	v_dual_mul_f32 v88, 0x3f4a47b2, v88 :: v_dual_sub_f32 v91, v243, v242
	s_delay_alu instid0(VALU_DEP_3) | instskip(NEXT) | instid1(VALU_DEP_4)
	v_add_f32_e32 v103, v84, v97
	v_fmamk_f32 v105, v102, 0x3eae86e6, v101
	v_mul_f32_e32 v95, 0xbf08b237, v95
	v_mul_f32_e32 v90, 0x3f4a47b2, v90
	v_fmamk_f32 v84, v89, 0x3d64c772, v88
	v_fmamk_f32 v93, v244, 0xbf955555, v107
	v_fmac_f32_e32 v105, 0x3ee1c552, v103
	v_fmamk_f32 v92, v240, 0xbf955555, v106
	ds_store_b64 v169, v[106:107] offset:896
	v_add_f32_e32 v94, v94, v96
	v_dual_fmamk_f32 v104, v100, 0x3eae86e6, v95 :: v_dual_sub_f32 v97, v87, v97
	v_add_f32_e32 v106, v84, v92
	v_fmamk_f32 v84, v91, 0x3d64c772, v90
	v_sub_f32_e32 v96, v86, v96
	s_delay_alu instid0(VALU_DEP_4) | instskip(SKIP_4) | instid1(VALU_DEP_2)
	v_fmac_f32_e32 v104, 0x3ee1c552, v94
	v_fma_f32 v86, 0x3f5ff5aa, v97, -v101
	v_sub_f32_e32 v167, v106, v105
	v_dual_add_f32 v107, v84, v93 :: v_dual_add_f32 v84, v105, v106
	v_fma_f32 v87, 0x3f5ff5aa, v96, -v95
	v_dual_fmac_f32 v86, 0x3ee1c552, v103 :: v_dual_sub_f32 v85, v107, v104
	s_delay_alu instid0(VALU_DEP_2)
	v_dual_add_f32 v168, v104, v107 :: v_dual_fmac_f32 v87, 0x3ee1c552, v94
	ds_store_2addr_b64 v83, v[98:99], v[84:85] offset0:96 offset1:152
	v_sub_f32_e32 v98, v238, v237
	v_mul_f32_e32 v84, 0x3d64c772, v89
	v_sub_f32_e32 v99, v242, v241
	v_mul_f32_e32 v85, 0x3d64c772, v91
	s_delay_alu instid0(VALU_DEP_4) | instskip(NEXT) | instid1(VALU_DEP_4)
	v_fma_f32 v88, 0xbf3bfb3b, v98, -v88
	v_fma_f32 v84, 0x3f3bfb3b, v98, -v84
	s_delay_alu instid0(VALU_DEP_3) | instskip(NEXT) | instid1(VALU_DEP_2)
	v_fma_f32 v85, 0x3f3bfb3b, v99, -v85
	v_add_f32_e32 v89, v84, v92
	s_delay_alu instid0(VALU_DEP_2) | instskip(NEXT) | instid1(VALU_DEP_2)
	v_add_f32_e32 v91, v85, v93
	v_sub_f32_e32 v84, v89, v86
	v_dual_add_f32 v86, v86, v89 :: v_dual_mul_f32 v89, 0x3f5ff5aa, v96
	s_delay_alu instid0(VALU_DEP_3) | instskip(SKIP_1) | instid1(VALU_DEP_3)
	v_add_f32_e32 v85, v87, v91
	v_sub_f32_e32 v87, v91, v87
	v_fma_f32 v91, 0xbeae86e6, v100, -v89
	v_mul_f32_e32 v89, 0x3f5ff5aa, v97
	s_delay_alu instid0(VALU_DEP_2) | instskip(NEXT) | instid1(VALU_DEP_2)
	v_fmac_f32_e32 v91, 0x3ee1c552, v94
	v_fma_f32 v95, 0xbeae86e6, v102, -v89
	v_fma_f32 v89, 0xbf3bfb3b, v99, -v90
	s_delay_alu instid0(VALU_DEP_2) | instskip(NEXT) | instid1(VALU_DEP_2)
	v_dual_add_f32 v90, v88, v92 :: v_dual_fmac_f32 v95, 0x3ee1c552, v103
	v_add_f32_e32 v92, v89, v93
	s_delay_alu instid0(VALU_DEP_1)
	v_dual_add_f32 v88, v95, v90 :: v_dual_sub_f32 v89, v92, v91
	v_dual_sub_f32 v90, v90, v95 :: v_dual_add_f32 v91, v91, v92
	ds_store_b64 v169, v[88:89] offset:3584
	ds_store_b64 v169, v[84:85] offset:4928
	;; [unrolled: 1-line block ×4, first 2 shown]
	v_lshlrev_b32_e32 v84, 3, v171
	ds_store_b64 v169, v[167:168] offset:8960
	global_wb scope:SCOPE_SE
	s_wait_dscnt 0x0
	s_barrier_signal -1
	s_barrier_wait -1
	global_inv scope:SCOPE_SE
	s_clause 0x3
	global_load_b64 v[89:90], v[120:121], off offset:9408
	global_load_b64 v[91:92], v84, s[0:1] offset:448
	global_load_b64 v[93:94], v84, s[0:1] offset:896
	;; [unrolled: 1-line block ×3, first 2 shown]
	ds_load_2addr_b64 v[85:88], v169 offset1:56
	s_wait_loadcnt_dscnt 0x300
	v_mul_f32_e32 v97, v86, v90
	v_mul_f32_e32 v98, v85, v90
	s_wait_loadcnt 0x2
	v_mul_f32_e32 v100, v87, v92
	s_delay_alu instid0(VALU_DEP_3) | instskip(NEXT) | instid1(VALU_DEP_3)
	v_fma_f32 v97, v85, v89, -v97
	v_dual_fmac_f32 v98, v86, v89 :: v_dual_mul_f32 v85, v88, v92
	s_delay_alu instid0(VALU_DEP_3)
	v_fmac_f32_e32 v100, v88, v91
	ds_store_b64 v169, v[97:98]
	v_fma_f32 v99, v87, v91, -v85
	s_clause 0x2
	global_load_b64 v[89:90], v84, s[0:1] offset:4704
	global_load_b64 v[91:92], v84, s[0:1] offset:5152
	;; [unrolled: 1-line block ×3, first 2 shown]
	ds_load_2addr_b64 v[85:88], v81 offset0:76 offset1:132
	s_wait_loadcnt_dscnt 0x200
	v_mul_f32_e32 v101, v86, v90
	v_mul_f32_e32 v102, v85, v90
	s_wait_loadcnt 0x1
	v_mul_f32_e32 v104, v87, v92
	s_delay_alu instid0(VALU_DEP_3) | instskip(NEXT) | instid1(VALU_DEP_3)
	v_fma_f32 v101, v85, v89, -v101
	v_dual_mul_f32 v85, v88, v92 :: v_dual_fmac_f32 v102, v86, v89
	s_delay_alu instid0(VALU_DEP_3) | instskip(NEXT) | instid1(VALU_DEP_2)
	v_fmac_f32_e32 v104, v88, v91
	v_fma_f32 v103, v87, v91, -v85
	ds_load_2addr_b64 v[85:88], v169 offset0:112 offset1:168
	s_wait_dscnt 0x0
	v_mul_f32_e32 v89, v86, v94
	v_mul_f32_e32 v106, v85, v94
	s_delay_alu instid0(VALU_DEP_2) | instskip(NEXT) | instid1(VALU_DEP_2)
	v_fma_f32 v105, v85, v93, -v89
	v_dual_fmac_f32 v106, v86, v93 :: v_dual_mul_f32 v85, v88, v96
	v_mul_f32_e32 v93, v87, v96
	s_delay_alu instid0(VALU_DEP_2) | instskip(NEXT) | instid1(VALU_DEP_2)
	v_fma_f32 v92, v87, v95, -v85
	v_fmac_f32_e32 v93, v88, v95
	s_clause 0x3
	global_load_b64 v[89:90], v84, s[0:1] offset:5600
	global_load_b64 v[94:95], v84, s[0:1] offset:6048
	;; [unrolled: 1-line block ×4, first 2 shown]
	ds_load_2addr_b64 v[85:88], v81 offset0:188 offset1:244
	s_wait_loadcnt_dscnt 0x300
	v_mul_f32_e32 v91, v86, v90
	v_mul_f32_e32 v112, v85, v90
	s_wait_loadcnt 0x2
	v_mul_f32_e32 v114, v87, v95
	s_delay_alu instid0(VALU_DEP_3) | instskip(NEXT) | instid1(VALU_DEP_3)
	v_fma_f32 v111, v85, v89, -v91
	v_dual_mul_f32 v85, v88, v95 :: v_dual_fmac_f32 v112, v86, v89
	s_delay_alu instid0(VALU_DEP_3) | instskip(NEXT) | instid1(VALU_DEP_2)
	v_fmac_f32_e32 v114, v88, v94
	v_fma_f32 v113, v87, v94, -v85
	s_clause 0x3
	global_load_b64 v[89:90], v84, s[0:1] offset:1792
	global_load_b64 v[94:95], v84, s[0:1] offset:2240
	;; [unrolled: 1-line block ×4, first 2 shown]
	ds_load_2addr_b64 v[85:88], v83 offset0:96 offset1:152
	s_wait_loadcnt_dscnt 0x300
	v_mul_f32_e32 v91, v86, v90
	v_mul_f32_e32 v215, v85, v90
	s_wait_loadcnt 0x2
	v_mul_f32_e32 v217, v87, v95
	s_delay_alu instid0(VALU_DEP_3) | instskip(SKIP_2) | instid1(VALU_DEP_4)
	v_fma_f32 v214, v85, v89, -v91
	v_mul_f32_e32 v85, v88, v95
	v_fmac_f32_e32 v215, v86, v89
	v_fmac_f32_e32 v217, v88, v94
	s_delay_alu instid0(VALU_DEP_3) | instskip(SKIP_4) | instid1(VALU_DEP_2)
	v_fma_f32 v216, v87, v94, -v85
	ds_load_2addr_b64 v[85:88], v79 offset0:44 offset1:100
	s_wait_dscnt 0x0
	v_mul_f32_e32 v89, v86, v108
	v_dual_mul_f32 v95, v85, v108 :: v_dual_mul_f32 v108, v87, v110
	v_fma_f32 v94, v85, v107, -v89
	v_mul_f32_e32 v85, v88, v110
	s_delay_alu instid0(VALU_DEP_3) | instskip(NEXT) | instid1(VALU_DEP_2)
	v_dual_fmac_f32 v95, v86, v107 :: v_dual_fmac_f32 v108, v88, v109
	v_fma_f32 v107, v87, v109, -v85
	ds_load_2addr_b64 v[85:88], v80 offset0:80 offset1:136
	s_wait_loadcnt_dscnt 0x100
	v_mul_f32_e32 v89, v86, v116
	v_mul_f32_e32 v110, v85, v116
	s_wait_loadcnt 0x0
	v_mul_f32_e32 v116, v87, v118
	s_delay_alu instid0(VALU_DEP_3) | instskip(NEXT) | instid1(VALU_DEP_3)
	v_fma_f32 v109, v85, v115, -v89
	v_dual_mul_f32 v85, v88, v118 :: v_dual_fmac_f32 v110, v86, v115
	s_delay_alu instid0(VALU_DEP_3) | instskip(NEXT) | instid1(VALU_DEP_2)
	v_fmac_f32_e32 v116, v88, v117
	v_fma_f32 v115, v87, v117, -v85
	s_clause 0x3
	global_load_b64 v[89:90], v84, s[0:1] offset:7392
	global_load_b64 v[117:118], v84, s[0:1] offset:7840
	;; [unrolled: 1-line block ×4, first 2 shown]
	ds_load_2addr_b64 v[85:88], v79 offset0:156 offset1:212
	s_wait_loadcnt_dscnt 0x300
	v_mul_f32_e32 v91, v86, v90
	v_mul_f32_e32 v223, v85, v90
	s_wait_loadcnt 0x2
	v_mul_f32_e32 v225, v87, v118
	s_delay_alu instid0(VALU_DEP_3) | instskip(NEXT) | instid1(VALU_DEP_3)
	v_fma_f32 v222, v85, v89, -v91
	v_fmac_f32_e32 v223, v86, v89
	global_load_b64 v[89:90], v84, s[0:1] offset:3584
	v_mul_f32_e32 v85, v88, v118
	v_fmac_f32_e32 v225, v88, v117
	s_delay_alu instid0(VALU_DEP_2) | instskip(SKIP_4) | instid1(VALU_DEP_2)
	v_fma_f32 v224, v87, v117, -v85
	ds_load_2addr_b64 v[85:88], v80 offset0:192 offset1:248
	s_wait_loadcnt_dscnt 0x0
	v_mul_f32_e32 v91, v86, v90
	v_mul_f32_e32 v118, v85, v90
	v_fma_f32 v117, v85, v89, -v91
	s_delay_alu instid0(VALU_DEP_2) | instskip(SKIP_1) | instid1(VALU_DEP_2)
	v_dual_mul_f32 v85, v88, v98 :: v_dual_fmac_f32 v118, v86, v89
	v_mul_f32_e32 v86, v87, v98
	v_fma_f32 v85, v87, v97, -v85
	v_add_nc_u32_e32 v87, 0x2000, v169
	s_delay_alu instid0(VALU_DEP_3) | instskip(SKIP_4) | instid1(VALU_DEP_2)
	v_fmac_f32_e32 v86, v88, v97
	ds_load_2addr_b64 v[88:91], v87 offset0:12 offset1:68
	s_wait_dscnt 0x0
	v_mul_f32_e32 v96, v89, v219
	v_mul_f32_e32 v97, v88, v219
	v_fma_f32 v96, v88, v218, -v96
	s_delay_alu instid0(VALU_DEP_2) | instskip(SKIP_1) | instid1(VALU_DEP_2)
	v_dual_mul_f32 v88, v91, v221 :: v_dual_fmac_f32 v97, v89, v218
	v_mul_f32_e32 v89, v90, v221
	v_fma_f32 v88, v90, v220, -v88
	s_delay_alu instid0(VALU_DEP_2)
	v_dual_fmac_f32 v89, v91, v220 :: v_dual_add_nc_u32 v90, 0x1400, v169
	ds_store_2addr_b64 v90, v[113:114], v[94:95] offset0:116 offset1:172
	ds_store_2addr_b64 v82, v[224:225], v[96:97] offset0:84 offset1:140
	v_add_nc_u32_e32 v82, 0xc00, v169
	ds_store_2addr_b64 v82, v[85:86], v[101:102] offset0:120 offset1:204
	ds_store_2addr_b64 v169, v[99:100], v[105:106] offset0:56 offset1:112
	;; [unrolled: 1-line block ×7, first 2 shown]
	ds_store_b64 v169, v[88:89] offset:8736
	s_and_saveexec_b32 s2, vcc_lo
	s_cbranch_execz .LBB0_17
; %bb.16:
	s_wait_alu 0xfffe
	v_add_co_u32 v84, s0, s0, v84
	s_wait_alu 0xf1ff
	v_add_co_ci_u32_e64 v85, null, s1, 0, s0
	s_clause 0x1
	global_load_b64 v[88:89], v[84:85], off offset:4480
	global_load_b64 v[84:85], v[84:85], off offset:9184
	ds_load_b64 v[90:91], v169 offset:4480
	ds_load_b64 v[92:93], v169 offset:9184
	s_wait_loadcnt_dscnt 0x101
	v_mul_f32_e32 v82, v91, v89
	v_mul_f32_e32 v86, v90, v89
	s_wait_loadcnt_dscnt 0x0
	v_mul_f32_e32 v89, v92, v85
	v_mul_f32_e32 v94, v93, v85
	s_delay_alu instid0(VALU_DEP_3) | instskip(NEXT) | instid1(VALU_DEP_3)
	v_fmac_f32_e32 v86, v91, v88
	v_fmac_f32_e32 v89, v93, v84
	v_fma_f32 v85, v90, v88, -v82
	s_delay_alu instid0(VALU_DEP_4)
	v_fma_f32 v88, v92, v84, -v94
	ds_store_b64 v169, v[85:86] offset:4480
	ds_store_b64 v169, v[88:89] offset:9184
.LBB0_17:
	s_wait_alu 0xfffe
	s_or_b32 exec_lo, exec_lo, s2
	global_wb scope:SCOPE_SE
	s_wait_dscnt 0x0
	s_barrier_signal -1
	s_barrier_wait -1
	global_inv scope:SCOPE_SE
	ds_load_2addr_b64 v[103:106], v169 offset1:56
	ds_load_2addr_b64 v[115:118], v81 offset0:76 offset1:132
	ds_load_2addr_b64 v[95:98], v169 offset0:112 offset1:168
	;; [unrolled: 1-line block ×9, first 2 shown]
	v_lshlrev_b32_e32 v214, 3, v78
	v_lshlrev_b32_e32 v199, 3, v199
	s_and_saveexec_b32 s0, vcc_lo
	s_cbranch_execz .LBB0_19
; %bb.18:
	ds_load_b64 v[167:168], v169 offset:4480
	ds_load_b64 v[76:77], v169 offset:9184
.LBB0_19:
	s_wait_alu 0xfffe
	s_or_b32 exec_lo, exec_lo, s0
	s_wait_dscnt 0x8
	v_dual_sub_f32 v117, v105, v117 :: v_dual_sub_f32 v118, v106, v118
	s_wait_dscnt 0x2
	v_dual_sub_f32 v225, v85, v101 :: v_dual_sub_f32 v226, v86, v102
	;; [unrolled: 2-line block ×3, first 2 shown]
	v_dual_sub_f32 v217, v103, v115 :: v_dual_sub_f32 v218, v104, v116
	v_dual_sub_f32 v221, v95, v111 :: v_dual_sub_f32 v222, v96, v112
	v_fma_f32 v115, v105, 2.0, -v117
	v_sub_f32_e32 v105, v97, v113
	v_fma_f32 v116, v106, 2.0, -v118
	v_dual_sub_f32 v106, v98, v114 :: v_dual_sub_f32 v99, v83, v99
	v_sub_f32_e32 v100, v84, v100
	v_fma_f32 v223, v85, 2.0, -v225
	v_fma_f32 v85, v79, 2.0, -v87
	v_dual_sub_f32 v78, v167, v76 :: v_dual_sub_f32 v79, v168, v77
	v_dual_sub_f32 v111, v91, v107 :: v_dual_sub_f32 v112, v92, v108
	v_fma_f32 v215, v103, 2.0, -v217
	v_fma_f32 v216, v104, 2.0, -v218
	;; [unrolled: 1-line block ×5, first 2 shown]
	v_dual_sub_f32 v95, v93, v109 :: v_dual_sub_f32 v96, v94, v110
	v_fma_f32 v104, v98, 2.0, -v106
	v_fma_f32 v97, v83, 2.0, -v99
	;; [unrolled: 1-line block ×3, first 2 shown]
	v_dual_sub_f32 v83, v81, v89 :: v_dual_sub_f32 v84, v82, v90
	v_fma_f32 v76, v167, 2.0, -v78
	v_fma_f32 v77, v168, 2.0, -v79
	;; [unrolled: 1-line block ×10, first 2 shown]
	global_wb scope:SCOPE_SE
	s_barrier_signal -1
	s_barrier_wait -1
	global_inv scope:SCOPE_SE
	ds_store_b128 v119, v[215:218]
	ds_store_b128 v175, v[115:118]
	ds_store_b128 v176, v[219:222]
	ds_store_b128 v177, v[103:106]
	ds_store_b128 v178, v[109:112]
	ds_store_b128 v179, v[93:96]
	ds_store_b128 v180, v[97:100]
	ds_store_b128 v214, v[223:226]
	ds_store_b128 v182, v[85:88]
	ds_store_b128 v199, v[81:84]
	s_and_saveexec_b32 s0, vcc_lo
	s_cbranch_execz .LBB0_21
; %bb.20:
	ds_store_b128 v181, v[76:79]
.LBB0_21:
	s_wait_alu 0xfffe
	s_or_b32 exec_lo, exec_lo, s0
	v_add_nc_u32_e32 v80, 0x1000, v169
	v_add_nc_u32_e32 v82, 0x1800, v169
	;; [unrolled: 1-line block ×5, first 2 shown]
	global_wb scope:SCOPE_SE
	s_wait_dscnt 0x0
	s_barrier_signal -1
	s_barrier_wait -1
	global_inv scope:SCOPE_SE
	ds_load_2addr_b64 v[84:87], v169 offset1:56
	ds_load_2addr_b64 v[108:111], v80 offset0:76 offset1:132
	ds_load_2addr_b64 v[88:91], v169 offset0:112 offset1:168
	;; [unrolled: 1-line block ×9, first 2 shown]
	s_and_saveexec_b32 s0, vcc_lo
	s_cbranch_execz .LBB0_23
; %bb.22:
	ds_load_b64 v[76:77], v169 offset:4480
	ds_load_b64 v[78:79], v169 offset:9184
.LBB0_23:
	s_wait_alu 0xfffe
	s_or_b32 exec_lo, exec_lo, s0
	s_wait_dscnt 0x8
	v_mul_f32_e32 v167, v166, v109
	v_mul_f32_e32 v175, v166, v111
	v_mul_f32_e32 v176, v166, v110
	v_mul_f32_e32 v168, v166, v108
	global_wb scope:SCOPE_SE
	s_wait_dscnt 0x0
	v_fmac_f32_e32 v167, v165, v108
	v_fmac_f32_e32 v175, v165, v110
	v_fma_f32 v110, v165, v111, -v176
	v_mul_f32_e32 v111, v166, v116
	v_mul_f32_e32 v176, v166, v118
	v_fma_f32 v108, v165, v109, -v168
	v_mul_f32_e32 v109, v166, v117
	v_mul_f32_e32 v168, v166, v119
	v_fma_f32 v111, v165, v117, -v111
	v_fma_f32 v117, v165, v119, -v176
	s_delay_alu instid0(VALU_DEP_4) | instskip(SKIP_2) | instid1(VALU_DEP_3)
	v_dual_mul_f32 v176, v166, v105 :: v_dual_fmac_f32 v109, v165, v116
	v_mul_f32_e32 v116, v166, v113
	v_fmac_f32_e32 v168, v165, v118
	v_dual_mul_f32 v119, v166, v114 :: v_dual_fmac_f32 v176, v165, v104
	v_mul_f32_e32 v177, v166, v103
	v_mul_f32_e32 v118, v166, v112
	v_fmac_f32_e32 v116, v165, v112
	v_mul_f32_e32 v112, v166, v115
	s_barrier_signal -1
	v_fmac_f32_e32 v177, v165, v102
	v_fma_f32 v113, v165, v113, -v118
	v_mul_f32_e32 v118, v166, v104
	v_fmac_f32_e32 v112, v165, v114
	v_fma_f32 v114, v165, v115, -v119
	v_mul_f32_e32 v104, v166, v106
	v_mul_f32_e32 v119, v166, v101
	v_fma_f32 v118, v165, v105, -v118
	v_mul_f32_e32 v105, v166, v100
	v_mul_f32_e32 v180, v166, v79
	;; [unrolled: 1-line block ×3, first 2 shown]
	s_barrier_wait -1
	global_inv scope:SCOPE_SE
	v_fma_f32 v179, v165, v101, -v105
	v_sub_f32_e32 v105, v91, v117
	v_fma_f32 v178, v165, v107, -v104
	v_sub_f32_e32 v107, v93, v113
	v_fmac_f32_e32 v180, v165, v78
	v_dual_fmac_f32 v115, v165, v106 :: v_dual_sub_f32 v106, v92, v116
	v_fmac_f32_e32 v119, v165, v100
	v_mul_f32_e32 v101, v166, v102
	v_mul_f32_e32 v102, v166, v78
	v_sub_f32_e32 v100, v84, v167
	v_dual_sub_f32 v104, v90, v168 :: v_dual_sub_f32 v113, v99, v178
	v_fma_f32 v91, v91, 2.0, -v105
	s_delay_alu instid0(VALU_DEP_4) | instskip(NEXT) | instid1(VALU_DEP_4)
	v_fma_f32 v167, v165, v79, -v102
	v_fma_f32 v78, v84, 2.0, -v100
	v_sub_f32_e32 v84, v86, v175
	v_dual_sub_f32 v102, v88, v109 :: v_dual_sub_f32 v109, v95, v114
	v_sub_f32_e32 v114, v80, v119
	v_fma_f32 v166, v165, v103, -v101
	v_sub_f32_e32 v101, v85, v108
	v_sub_f32_e32 v103, v89, v111
	v_dual_sub_f32 v111, v97, v118 :: v_dual_sub_f32 v118, v76, v180
	v_sub_f32_e32 v119, v77, v167
	s_delay_alu instid0(VALU_DEP_4)
	v_fma_f32 v79, v85, 2.0, -v101
	v_dual_sub_f32 v85, v87, v110 :: v_dual_sub_f32 v108, v94, v112
	v_sub_f32_e32 v110, v96, v176
	v_sub_f32_e32 v112, v98, v115
	;; [unrolled: 1-line block ×3, first 2 shown]
	v_dual_sub_f32 v165, v82, v177 :: v_dual_sub_f32 v166, v83, v166
	v_fma_f32 v116, v76, 2.0, -v118
	v_fma_f32 v117, v77, 2.0, -v119
	;; [unrolled: 1-line block ×19, first 2 shown]
	ds_store_2addr_b64 v192, v[78:79], v[100:101] offset1:2
	ds_store_2addr_b64 v191, v[86:87], v[84:85] offset1:2
	;; [unrolled: 1-line block ×10, first 2 shown]
	s_and_saveexec_b32 s0, vcc_lo
	s_cbranch_execz .LBB0_25
; %bb.24:
	v_and_or_b32 v76, 0x4fc, v172, v173
	s_delay_alu instid0(VALU_DEP_1)
	v_lshlrev_b32_e32 v76, 3, v76
	ds_store_2addr_b64 v76, v[116:117], v[118:119] offset1:2
.LBB0_25:
	s_wait_alu 0xfffe
	s_or_b32 exec_lo, exec_lo, s0
	v_add_nc_u32_e32 v76, 0x1000, v169
	v_add_nc_u32_e32 v78, 0x1800, v169
	;; [unrolled: 1-line block ×5, first 2 shown]
	global_wb scope:SCOPE_SE
	s_wait_dscnt 0x0
	s_barrier_signal -1
	s_barrier_wait -1
	global_inv scope:SCOPE_SE
	ds_load_2addr_b64 v[92:95], v169 offset1:56
	ds_load_2addr_b64 v[108:111], v76 offset0:76 offset1:132
	ds_load_2addr_b64 v[88:91], v169 offset0:112 offset1:168
	;; [unrolled: 1-line block ×9, first 2 shown]
	s_and_saveexec_b32 s0, vcc_lo
	s_cbranch_execz .LBB0_27
; %bb.26:
	ds_load_b64 v[116:117], v169 offset:4480
	ds_load_b64 v[118:119], v169 offset:9184
.LBB0_27:
	s_wait_alu 0xfffe
	s_or_b32 exec_lo, exec_lo, s0
	s_wait_dscnt 0x8
	v_mul_f32_e32 v165, v164, v109
	v_mul_f32_e32 v167, v164, v111
	;; [unrolled: 1-line block ×4, first 2 shown]
	s_wait_dscnt 0x0
	v_dual_mul_f32 v176, v164, v99 :: v_dual_fmac_f32 v165, v163, v108
	v_fmac_f32_e32 v167, v163, v110
	v_fma_f32 v108, v163, v109, -v166
	v_fma_f32 v109, v163, v111, -v168
	s_delay_alu instid0(VALU_DEP_4) | instskip(SKIP_3) | instid1(VALU_DEP_4)
	v_dual_mul_f32 v111, v164, v115 :: v_dual_fmac_f32 v176, v163, v98
	v_mul_f32_e32 v110, v164, v112
	v_mul_f32_e32 v168, v164, v103
	;; [unrolled: 1-line block ×3, first 2 shown]
	v_dual_fmac_f32 v111, v163, v114 :: v_dual_mul_f32 v166, v164, v105
	s_delay_alu instid0(VALU_DEP_4) | instskip(NEXT) | instid1(VALU_DEP_4)
	v_fma_f32 v110, v163, v113, -v110
	v_dual_mul_f32 v113, v164, v104 :: v_dual_fmac_f32 v168, v163, v102
	s_delay_alu instid0(VALU_DEP_4) | instskip(SKIP_2) | instid1(VALU_DEP_4)
	v_dual_fmac_f32 v173, v163, v112 :: v_dual_mul_f32 v112, v164, v114
	v_mul_f32_e32 v175, v164, v97
	v_mul_f32_e32 v114, v164, v107
	v_fma_f32 v105, v163, v105, -v113
	v_mul_f32_e32 v113, v164, v101
	v_fma_f32 v112, v163, v115, -v112
	v_fmac_f32_e32 v175, v163, v96
	v_dual_fmac_f32 v114, v163, v106 :: v_dual_mul_f32 v115, v164, v100
	s_delay_alu instid0(VALU_DEP_4) | instskip(SKIP_2) | instid1(VALU_DEP_4)
	v_dual_fmac_f32 v113, v163, v100 :: v_dual_mul_f32 v100, v164, v102
	v_fmac_f32_e32 v166, v163, v104
	v_mul_f32_e32 v104, v164, v106
	v_sub_f32_e32 v106, v82, v114
	v_fma_f32 v115, v163, v101, -v115
	v_mul_f32_e32 v101, v164, v96
	v_fma_f32 v177, v163, v103, -v100
	v_dual_mul_f32 v100, v164, v98 :: v_dual_sub_f32 v105, v81, v105
	v_sub_f32_e32 v98, v94, v167
	s_delay_alu instid0(VALU_DEP_4)
	v_fma_f32 v178, v163, v97, -v101
	v_sub_f32_e32 v97, v93, v108
	v_fma_f32 v107, v163, v107, -v104
	v_sub_f32_e32 v96, v92, v165
	;; [unrolled: 2-line block ×3, first 2 shown]
	v_dual_sub_f32 v100, v88, v173 :: v_dual_sub_f32 v109, v85, v115
	v_dual_sub_f32 v101, v89, v110 :: v_dual_sub_f32 v102, v90, v111
	;; [unrolled: 1-line block ×3, first 2 shown]
	v_sub_f32_e32 v111, v87, v177
	v_fma_f32 v93, v93, 2.0, -v97
	v_sub_f32_e32 v107, v83, v107
	v_fma_f32 v92, v92, 2.0, -v96
	v_dual_sub_f32 v108, v84, v113 :: v_dual_sub_f32 v113, v77, v178
	v_sub_f32_e32 v110, v86, v168
	v_dual_sub_f32 v112, v76, v175 :: v_dual_sub_f32 v115, v79, v165
	v_sub_f32_e32 v114, v78, v176
	v_fma_f32 v94, v94, 2.0, -v98
	v_fma_f32 v95, v95, 2.0, -v99
	v_fma_f32 v88, v88, 2.0, -v100
	v_fma_f32 v89, v89, 2.0, -v101
	v_fma_f32 v90, v90, 2.0, -v102
	v_fma_f32 v91, v91, 2.0, -v103
	v_fma_f32 v80, v80, 2.0, -v104
	v_fma_f32 v81, v81, 2.0, -v105
	v_fma_f32 v82, v82, 2.0, -v106
	v_fma_f32 v83, v83, 2.0, -v107
	v_fma_f32 v84, v84, 2.0, -v108
	v_fma_f32 v85, v85, 2.0, -v109
	v_fma_f32 v86, v86, 2.0, -v110
	v_fma_f32 v87, v87, 2.0, -v111
	v_fma_f32 v76, v76, 2.0, -v112
	v_fma_f32 v77, v77, 2.0, -v113
	v_fma_f32 v78, v78, 2.0, -v114
	v_fma_f32 v79, v79, 2.0, -v115
	global_wb scope:SCOPE_SE
	s_barrier_signal -1
	s_barrier_wait -1
	global_inv scope:SCOPE_SE
	ds_store_2addr_b64 v203, v[92:93], v[96:97] offset1:4
	ds_store_2addr_b64 v202, v[94:95], v[98:99] offset1:4
	;; [unrolled: 1-line block ×10, first 2 shown]
	s_and_saveexec_b32 s0, vcc_lo
	s_cbranch_execz .LBB0_29
; %bb.28:
	v_mul_f32_e32 v76, v164, v118
	v_and_or_b32 v80, 0x4f8, v172, v174
	s_delay_alu instid0(VALU_DEP_2) | instskip(SKIP_1) | instid1(VALU_DEP_3)
	v_fma_f32 v76, v163, v119, -v76
	v_mul_f32_e32 v78, v164, v119
	v_lshlrev_b32_e32 v80, 3, v80
	s_delay_alu instid0(VALU_DEP_2) | instskip(NEXT) | instid1(VALU_DEP_1)
	v_dual_sub_f32 v77, v117, v76 :: v_dual_fmac_f32 v78, v163, v118
	v_fma_f32 v79, v117, 2.0, -v77
	s_delay_alu instid0(VALU_DEP_2) | instskip(NEXT) | instid1(VALU_DEP_1)
	v_sub_f32_e32 v76, v116, v78
	v_fma_f32 v78, v116, 2.0, -v76
	ds_store_2addr_b64 v80, v[78:79], v[76:77] offset1:4
.LBB0_29:
	s_wait_alu 0xfffe
	s_or_b32 exec_lo, exec_lo, s0
	v_add_nc_u32_e32 v76, 0x800, v169
	v_add_nc_u32_e32 v77, 0x1800, v169
	global_wb scope:SCOPE_SE
	s_wait_dscnt 0x0
	s_barrier_signal -1
	s_barrier_wait -1
	global_inv scope:SCOPE_SE
	ds_load_2addr_b64 v[81:84], v76 offset0:80 offset1:136
	ds_load_2addr_b64 v[85:88], v77 offset0:16 offset1:72
	;; [unrolled: 1-line block ×3, first 2 shown]
	ds_load_2addr_b64 v[93:96], v169 offset1:56
	ds_load_2addr_b64 v[97:100], v169 offset0:112 offset1:168
	v_add_nc_u32_e32 v79, 0x1000, v169
	v_add_nc_u32_e32 v78, 0x400, v169
	;; [unrolled: 1-line block ×3, first 2 shown]
	s_mov_b32 s2, 0x899406f7
	s_mov_b32 s3, 0x3f4bdd2b
	s_wait_dscnt 0x3
	v_dual_mul_f32 v167, v1, v83 :: v_dual_mul_f32 v168, v3, v86
	s_wait_dscnt 0x2
	v_mul_f32_e32 v173, v1, v90
	ds_load_b64 v[117:118], v169 offset:8960
	ds_load_2addr_b64 v[101:104], v77 offset0:128 offset1:184
	ds_load_2addr_b64 v[105:108], v79 offset0:48 offset1:104
	;; [unrolled: 1-line block ×5, first 2 shown]
	v_dual_mul_f32 v119, v1, v84 :: v_dual_mul_f32 v172, v3, v85
	v_dual_mul_f32 v174, v1, v89 :: v_dual_mul_f32 v175, v3, v88
	v_dual_fmac_f32 v168, v2, v85 :: v_dual_mul_f32 v85, v3, v87
	s_delay_alu instid0(VALU_DEP_3)
	v_fmac_f32_e32 v119, v0, v83
	v_fma_f32 v83, v0, v84, -v167
	v_fma_f32 v84, v2, v86, -v172
	v_fmac_f32_e32 v173, v0, v89
	v_fma_f32 v86, v0, v90, -v174
	v_fma_f32 v88, v2, v88, -v85
	global_wb scope:SCOPE_SE
	s_wait_dscnt 0x0
	s_barrier_signal -1
	s_barrier_wait -1
	v_mul_f32_e32 v172, v3, v102
	v_dual_mul_f32 v174, v1, v106 :: v_dual_fmac_f32 v175, v2, v87
	v_dual_mul_f32 v87, v1, v91 :: v_dual_mul_f32 v176, v3, v114
	v_mul_f32_e32 v85, v3, v101
	s_delay_alu instid0(VALU_DEP_4) | instskip(NEXT) | instid1(VALU_DEP_3)
	v_dual_mul_f32 v167, v1, v92 :: v_dual_fmac_f32 v172, v2, v101
	v_fma_f32 v90, v0, v92, -v87
	v_mul_f32_e32 v87, v1, v105
	s_delay_alu instid0(VALU_DEP_4) | instskip(SKIP_2) | instid1(VALU_DEP_4)
	v_fma_f32 v92, v2, v102, -v85
	v_dual_mul_f32 v101, v3, v104 :: v_dual_fmac_f32 v176, v2, v113
	v_mul_f32_e32 v85, v3, v103
	v_fma_f32 v102, v0, v106, -v87
	v_mul_f32_e32 v87, v1, v107
	s_delay_alu instid0(VALU_DEP_4)
	v_fmac_f32_e32 v101, v2, v103
	v_dual_fmac_f32 v167, v0, v91 :: v_dual_mul_f32 v106, v1, v108
	v_fma_f32 v103, v2, v104, -v85
	v_mul_f32_e32 v85, v3, v113
	v_fma_f32 v104, v0, v108, -v87
	v_mul_f32_e32 v177, v1, v164
	v_sub_f32_e32 v89, v119, v168
	v_mul_f32_e32 v113, v3, v116
	v_fma_f32 v108, v2, v114, -v85
	v_mul_f32_e32 v85, v3, v115
	v_mul_f32_e32 v87, v1, v163
	v_fmac_f32_e32 v177, v0, v163
	v_mul_f32_e32 v163, v1, v166
	v_fmac_f32_e32 v113, v2, v115
	v_mul_f32_e32 v1, v1, v165
	v_fma_f32 v115, v2, v116, -v85
	v_mul_f32_e32 v116, v3, v118
	v_mul_f32_e32 v3, v3, v117
	v_fma_f32 v114, v0, v164, -v87
	v_fma_f32 v164, v0, v166, -v1
	s_delay_alu instid0(VALU_DEP_4) | instskip(NEXT) | instid1(VALU_DEP_4)
	v_dual_add_f32 v1, v93, v119 :: v_dual_fmac_f32 v116, v2, v117
	v_fma_f32 v118, v2, v118, -v3
	v_add_f32_e32 v3, v83, v84
	s_delay_alu instid0(VALU_DEP_3) | instskip(SKIP_1) | instid1(VALU_DEP_3)
	v_dual_add_f32 v87, v94, v83 :: v_dual_add_f32 v2, v1, v168
	v_dual_sub_f32 v85, v83, v84 :: v_dual_fmac_f32 v174, v0, v105
	v_fma_f32 v1, -0.5, v3, v94
	s_delay_alu instid0(VALU_DEP_3) | instskip(SKIP_1) | instid1(VALU_DEP_3)
	v_add_f32_e32 v3, v87, v84
	v_dual_sub_f32 v91, v86, v88 :: v_dual_fmac_f32 v106, v0, v107
	v_dual_add_f32 v105, v98, v90 :: v_dual_fmamk_f32 v84, v89, 0x3f5db3d7, v1
	v_fmac_f32_e32 v1, 0xbf5db3d7, v89
	v_dual_add_f32 v89, v86, v88 :: v_dual_add_f32 v86, v96, v86
	v_dual_add_f32 v87, v95, v173 :: v_dual_add_f32 v94, v90, v92
	s_delay_alu instid0(VALU_DEP_2) | instskip(NEXT) | instid1(VALU_DEP_3)
	v_dual_sub_f32 v107, v102, v103 :: v_dual_fmac_f32 v96, -0.5, v89
	v_dual_sub_f32 v89, v173, v175 :: v_dual_add_f32 v86, v86, v88
	v_add_f32_e32 v117, v104, v108
	global_inv scope:SCOPE_SE
	v_fmamk_f32 v88, v89, 0x3f5db3d7, v96
	v_fmac_f32_e32 v96, 0xbf5db3d7, v89
	v_dual_fmac_f32 v163, v0, v165 :: v_dual_add_f32 v0, v119, v168
	v_add_f32_e32 v119, v110, v104
	v_sub_f32_e32 v165, v164, v118
	s_delay_alu instid0(VALU_DEP_3) | instskip(SKIP_1) | instid1(VALU_DEP_2)
	v_fma_f32 v0, -0.5, v0, v93
	v_add_f32_e32 v93, v97, v167
	v_fmamk_f32 v83, v85, 0xbf5db3d7, v0
	v_dual_fmac_f32 v0, 0x3f5db3d7, v85 :: v_dual_add_f32 v85, v173, v175
	s_delay_alu instid0(VALU_DEP_1) | instskip(SKIP_1) | instid1(VALU_DEP_2)
	v_fma_f32 v95, -0.5, v85, v95
	v_add_f32_e32 v85, v87, v175
	v_fmamk_f32 v87, v91, 0xbf5db3d7, v95
	v_fmac_f32_e32 v95, 0x3f5db3d7, v91
	v_add_f32_e32 v91, v167, v172
	s_delay_alu instid0(VALU_DEP_1)
	v_fma_f32 v89, -0.5, v91, v97
	v_sub_f32_e32 v97, v90, v92
	v_fma_f32 v90, -0.5, v94, v98
	v_sub_f32_e32 v98, v167, v172
	v_add_f32_e32 v91, v93, v172
	v_add_f32_e32 v92, v105, v92
	v_fmamk_f32 v93, v97, 0xbf5db3d7, v89
	v_fmac_f32_e32 v89, 0x3f5db3d7, v97
	v_add_f32_e32 v97, v174, v101
	v_fmamk_f32 v94, v98, 0x3f5db3d7, v90
	v_fmac_f32_e32 v90, 0xbf5db3d7, v98
	v_add_f32_e32 v98, v102, v103
	v_add_f32_e32 v102, v100, v102
	;; [unrolled: 1-line block ×3, first 2 shown]
	v_fma_f32 v99, -0.5, v97, v99
	s_delay_alu instid0(VALU_DEP_4) | instskip(NEXT) | instid1(VALU_DEP_4)
	v_fmac_f32_e32 v100, -0.5, v98
	v_add_f32_e32 v98, v102, v103
	v_add_f32_e32 v103, v106, v176
	;; [unrolled: 1-line block ×3, first 2 shown]
	v_sub_f32_e32 v105, v174, v101
	v_fmamk_f32 v101, v107, 0xbf5db3d7, v99
	v_fmac_f32_e32 v99, 0x3f5db3d7, v107
	v_add_f32_e32 v107, v109, v106
	v_fma_f32 v103, -0.5, v103, v109
	v_sub_f32_e32 v109, v104, v108
	v_fma_f32 v104, -0.5, v117, v110
	v_sub_f32_e32 v110, v106, v176
	v_fmamk_f32 v102, v105, 0x3f5db3d7, v100
	v_dual_fmac_f32 v100, 0xbf5db3d7, v105 :: v_dual_add_f32 v105, v107, v176
	v_fmamk_f32 v107, v109, 0xbf5db3d7, v103
	v_dual_fmac_f32 v103, 0x3f5db3d7, v109 :: v_dual_add_f32 v106, v119, v108
	v_dual_add_f32 v109, v177, v113 :: v_dual_fmamk_f32 v108, v110, 0x3f5db3d7, v104
	v_dual_add_f32 v117, v111, v177 :: v_dual_fmac_f32 v104, 0xbf5db3d7, v110
	v_add_f32_e32 v110, v114, v115
	s_delay_alu instid0(VALU_DEP_3) | instskip(SKIP_1) | instid1(VALU_DEP_4)
	v_fma_f32 v111, -0.5, v109, v111
	v_sub_f32_e32 v119, v114, v115
	v_dual_add_f32 v109, v117, v113 :: v_dual_add_f32 v114, v112, v114
	s_delay_alu instid0(VALU_DEP_4) | instskip(NEXT) | instid1(VALU_DEP_3)
	v_dual_fmac_f32 v112, -0.5, v110 :: v_dual_sub_f32 v117, v177, v113
	v_fmamk_f32 v113, v119, 0xbf5db3d7, v111
	v_fmac_f32_e32 v111, 0x3f5db3d7, v119
	s_delay_alu instid0(VALU_DEP_4) | instskip(NEXT) | instid1(VALU_DEP_4)
	v_dual_add_f32 v110, v114, v115 :: v_dual_add_f32 v115, v163, v116
	v_fmamk_f32 v114, v117, 0x3f5db3d7, v112
	v_dual_fmac_f32 v112, 0xbf5db3d7, v117 :: v_dual_add_f32 v117, v164, v118
	v_add_f32_e32 v119, v81, v163
	s_delay_alu instid0(VALU_DEP_4) | instskip(SKIP_1) | instid1(VALU_DEP_4)
	v_fma_f32 v81, -0.5, v115, v81
	v_add_f32_e32 v164, v82, v164
	v_dual_sub_f32 v163, v163, v116 :: v_dual_fmac_f32 v82, -0.5, v117
	s_delay_alu instid0(VALU_DEP_4) | instskip(NEXT) | instid1(VALU_DEP_4)
	v_add_f32_e32 v115, v119, v116
	v_fmamk_f32 v117, v165, 0xbf5db3d7, v81
	s_delay_alu instid0(VALU_DEP_4) | instskip(NEXT) | instid1(VALU_DEP_4)
	v_dual_fmac_f32 v81, 0x3f5db3d7, v165 :: v_dual_add_f32 v116, v164, v118
	v_fmamk_f32 v118, v163, 0x3f5db3d7, v82
	v_fmac_f32_e32 v82, 0xbf5db3d7, v163
	ds_store_2addr_b64 v204, v[2:3], v[83:84] offset1:8
	ds_store_b64 v204, v[0:1] offset:128
	ds_store_2addr_b64 v205, v[85:86], v[87:88] offset1:8
	ds_store_b64 v205, v[95:96] offset:128
	;; [unrolled: 2-line block ×7, first 2 shown]
	global_wb scope:SCOPE_SE
	s_wait_dscnt 0x0
	s_barrier_signal -1
	s_barrier_wait -1
	global_inv scope:SCOPE_SE
	ds_load_2addr_b64 v[0:3], v169 offset0:112 offset1:168
	ds_load_2addr_b64 v[81:84], v76 offset0:80 offset1:136
	;; [unrolled: 1-line block ×4, first 2 shown]
	ds_load_2addr_b64 v[93:96], v169 offset1:56
	ds_load_2addr_b64 v[97:100], v77 offset0:16 offset1:72
	ds_load_2addr_b64 v[101:104], v80 offset0:112 offset1:168
	ds_load_2addr_b64 v[105:108], v78 offset0:96 offset1:152
	ds_load_2addr_b64 v[109:112], v79 offset0:48 offset1:104
	ds_load_2addr_b64 v[113:116], v77 offset0:128 offset1:184
	ds_load_b64 v[117:118], v169 offset:8960
	global_wb scope:SCOPE_SE
	s_wait_dscnt 0x0
	s_barrier_signal -1
	s_barrier_wait -1
	global_inv scope:SCOPE_SE
	v_mul_f32_e32 v119, v5, v3
	v_mul_f32_e32 v163, v29, v88
	;; [unrolled: 1-line block ×3, first 2 shown]
	s_delay_alu instid0(VALU_DEP_3) | instskip(SKIP_4) | instid1(VALU_DEP_4)
	v_fmac_f32_e32 v119, v4, v2
	v_mul_f32_e32 v2, v5, v2
	v_mul_f32_e32 v5, v7, v82
	;; [unrolled: 1-line block ×3, first 2 shown]
	v_fmac_f32_e32 v163, v28, v87
	v_fma_f32 v2, v4, v3, -v2
	s_delay_alu instid0(VALU_DEP_4) | instskip(NEXT) | instid1(VALU_DEP_4)
	v_fmac_f32_e32 v5, v6, v81
	v_fma_f32 v3, v6, v82, -v7
	v_fma_f32 v4, v28, v88, -v29
	v_mul_f32_e32 v6, v31, v90
	v_dual_mul_f32 v7, v31, v89 :: v_dual_mul_f32 v28, v33, v100
	v_mul_f32_e32 v29, v33, v99
	s_delay_alu instid0(VALU_DEP_3) | instskip(NEXT) | instid1(VALU_DEP_3)
	v_dual_mul_f32 v31, v35, v102 :: v_dual_fmac_f32 v6, v30, v89
	v_fma_f32 v7, v30, v90, -v7
	s_delay_alu instid0(VALU_DEP_4) | instskip(NEXT) | instid1(VALU_DEP_4)
	v_fmac_f32_e32 v28, v32, v99
	v_fma_f32 v29, v32, v100, -v29
	v_mul_f32_e32 v30, v35, v101
	v_mul_f32_e32 v32, v21, v106
	;; [unrolled: 1-line block ×5, first 2 shown]
	v_fmac_f32_e32 v31, v34, v101
	v_fma_f32 v30, v34, v102, -v30
	v_fmac_f32_e32 v32, v20, v105
	v_fma_f32 v20, v20, v106, -v21
	;; [unrolled: 2-line block ×3, first 2 shown]
	v_mul_f32_e32 v22, v13, v110
	v_mul_f32_e32 v13, v13, v109
	;; [unrolled: 1-line block ×5, first 2 shown]
	v_dual_mul_f32 v15, v15, v91 :: v_dual_fmac_f32 v22, v12, v109
	v_fma_f32 v35, v12, v110, -v13
	v_fmac_f32_e32 v34, v8, v113
	v_mul_f32_e32 v82, v11, v104
	v_mul_f32_e32 v83, v17, v108
	;; [unrolled: 1-line block ×3, first 2 shown]
	v_fma_f32 v17, v8, v114, -v9
	v_mul_f32_e32 v88, v19, v86
	v_dual_mul_f32 v8, v19, v85 :: v_dual_mul_f32 v9, v25, v111
	v_fmac_f32_e32 v23, v14, v91
	v_fma_f32 v81, v14, v92, -v15
	v_mul_f32_e32 v11, v11, v103
	v_fmac_f32_e32 v82, v10, v103
	v_fma_f32 v87, v16, v108, -v12
	v_mul_f32_e32 v90, v27, v98
	v_fmac_f32_e32 v88, v18, v85
	v_fma_f32 v85, v18, v86, -v8
	v_fma_f32 v86, v24, v112, -v9
	v_dual_mul_f32 v8, v27, v97 :: v_dual_mul_f32 v91, v37, v116
	v_dual_mul_f32 v9, v37, v115 :: v_dual_add_f32 v12, v3, v29
	v_dual_sub_f32 v3, v3, v29 :: v_dual_add_f32 v14, v4, v7
	v_sub_f32_e32 v4, v7, v4
	v_fma_f32 v84, v10, v104, -v11
	v_dual_fmac_f32 v90, v26, v97 :: v_dual_mul_f32 v37, v39, v118
	v_mul_f32_e32 v10, v39, v117
	v_fma_f32 v39, v26, v98, -v8
	v_fmac_f32_e32 v91, v36, v115
	v_fma_f32 v36, v36, v116, -v9
	v_dual_add_f32 v9, v2, v30 :: v_dual_sub_f32 v26, v4, v3
	v_dual_add_f32 v11, v5, v28 :: v_dual_sub_f32 v2, v2, v30
	v_add_f32_e32 v13, v163, v6
	s_delay_alu instid0(VALU_DEP_3)
	v_add_f32_e32 v15, v12, v9
	v_sub_f32_e32 v18, v12, v9
	v_sub_f32_e32 v12, v14, v12
	v_mul_f32_e32 v26, 0x3f08b237, v26
	v_add_f32_e32 v8, v119, v31
	v_fmac_f32_e32 v83, v16, v107
	v_mul_f32_e32 v89, v25, v112
	v_fmac_f32_e32 v37, v38, v117
	v_fma_f32 v38, v38, v118, -v10
	v_add_f32_e32 v7, v11, v8
	v_sub_f32_e32 v10, v119, v31
	v_sub_f32_e32 v6, v6, v163
	;; [unrolled: 1-line block ×3, first 2 shown]
	v_dual_sub_f32 v8, v8, v13 :: v_dual_sub_f32 v9, v9, v14
	v_sub_f32_e32 v11, v13, v11
	v_add_f32_e32 v7, v13, v7
	v_dual_add_f32 v13, v14, v15 :: v_dual_sub_f32 v14, v3, v2
	v_sub_f32_e32 v5, v5, v28
	v_fmac_f32_e32 v89, v24, v111
	v_add_f32_e32 v24, v4, v3
	v_sub_f32_e32 v4, v2, v4
	v_add_f32_e32 v3, v94, v13
	v_add_f32_e32 v19, v6, v5
	v_sub_f32_e32 v25, v6, v5
	v_sub_f32_e32 v5, v5, v10
	;; [unrolled: 1-line block ×3, first 2 shown]
	v_add_f32_e32 v15, v24, v2
	v_add_f32_e32 v10, v19, v10
	;; [unrolled: 1-line block ×3, first 2 shown]
	v_dual_mul_f32 v8, 0x3f4a47b2, v8 :: v_dual_mul_f32 v9, 0x3f4a47b2, v9
	v_dual_mul_f32 v19, 0x3d64c772, v11 :: v_dual_mul_f32 v24, 0x3d64c772, v12
	v_mul_f32_e32 v25, 0x3f08b237, v25
	v_dual_mul_f32 v27, 0xbf5ff5aa, v5 :: v_dual_mul_f32 v28, 0xbf5ff5aa, v14
	v_fmamk_f32 v7, v7, 0xbf955555, v2
	v_fmamk_f32 v13, v13, 0xbf955555, v3
	v_dual_fmamk_f32 v11, v11, 0x3d64c772, v8 :: v_dual_fmamk_f32 v12, v12, 0x3d64c772, v9
	v_fma_f32 v19, 0x3f3bfb3b, v16, -v19
	v_fma_f32 v24, 0x3f3bfb3b, v18, -v24
	;; [unrolled: 1-line block ×4, first 2 shown]
	v_fmamk_f32 v16, v6, 0xbeae86e6, v25
	v_fmamk_f32 v18, v4, 0xbeae86e6, v26
	v_fma_f32 v25, 0xbf5ff5aa, v5, -v25
	v_fma_f32 v14, 0xbf5ff5aa, v14, -v26
	;; [unrolled: 1-line block ×4, first 2 shown]
	v_dual_add_f32 v28, v11, v7 :: v_dual_add_f32 v29, v12, v13
	v_dual_add_f32 v11, v19, v7 :: v_dual_add_f32 v12, v24, v13
	v_add_f32_e32 v19, v8, v7
	v_dual_add_f32 v13, v9, v13 :: v_dual_fmac_f32 v16, 0xbee1c552, v10
	v_dual_fmac_f32 v18, 0xbee1c552, v15 :: v_dual_fmac_f32 v25, 0xbee1c552, v10
	v_dual_fmac_f32 v27, 0xbee1c552, v15 :: v_dual_fmac_f32 v26, 0xbee1c552, v10
	v_fmac_f32_e32 v14, 0xbee1c552, v15
	s_delay_alu instid0(VALU_DEP_3)
	v_add_f32_e32 v4, v18, v28
	v_sub_f32_e32 v5, v29, v16
	v_add_f32_e32 v15, v16, v29
	v_add_f32_e32 v16, v32, v82
	v_dual_sub_f32 v8, v11, v14 :: v_dual_add_f32 v9, v25, v12
	v_dual_add_f32 v10, v14, v11 :: v_dual_sub_f32 v11, v12, v25
	v_dual_sub_f32 v12, v19, v27 :: v_dual_sub_f32 v7, v13, v26
	v_dual_add_f32 v13, v26, v13 :: v_dual_sub_f32 v14, v28, v18
	v_add_f32_e32 v18, v20, v84
	v_add_f32_e32 v24, v33, v34
	v_sub_f32_e32 v26, v33, v34
	v_dual_add_f32 v25, v21, v17 :: v_dual_add_f32 v6, v27, v19
	v_sub_f32_e32 v19, v32, v82
	v_dual_sub_f32 v20, v20, v84 :: v_dual_sub_f32 v17, v21, v17
	v_add_f32_e32 v21, v22, v23
	v_add_f32_e32 v27, v35, v81
	v_dual_sub_f32 v22, v23, v22 :: v_dual_sub_f32 v23, v81, v35
	v_dual_add_f32 v28, v24, v16 :: v_dual_add_f32 v29, v25, v18
	v_dual_sub_f32 v30, v24, v16 :: v_dual_sub_f32 v31, v25, v18
	v_sub_f32_e32 v32, v16, v21
	v_sub_f32_e32 v18, v18, v27
	v_dual_sub_f32 v24, v21, v24 :: v_dual_sub_f32 v25, v27, v25
	v_dual_add_f32 v16, v22, v26 :: v_dual_add_f32 v33, v23, v17
	v_dual_sub_f32 v34, v22, v26 :: v_dual_sub_f32 v35, v23, v17
	v_dual_sub_f32 v26, v26, v19 :: v_dual_add_f32 v21, v21, v28
	v_dual_add_f32 v27, v27, v29 :: v_dual_sub_f32 v28, v17, v20
	v_dual_sub_f32 v22, v19, v22 :: v_dual_sub_f32 v23, v20, v23
	v_dual_add_f32 v19, v16, v19 :: v_dual_add_f32 v20, v33, v20
	s_delay_alu instid0(VALU_DEP_3)
	v_dual_add_f32 v16, v95, v21 :: v_dual_add_f32 v17, v96, v27
	v_dual_mul_f32 v29, 0x3f4a47b2, v32 :: v_dual_mul_f32 v18, 0x3f4a47b2, v18
	v_dual_mul_f32 v32, 0x3d64c772, v24 :: v_dual_mul_f32 v33, 0x3d64c772, v25
	;; [unrolled: 1-line block ×4, first 2 shown]
	v_fmamk_f32 v21, v21, 0xbf955555, v16
	v_fmamk_f32 v27, v27, 0xbf955555, v17
	v_dual_fmamk_f32 v24, v24, 0x3d64c772, v29 :: v_dual_fmamk_f32 v25, v25, 0x3d64c772, v18
	v_fma_f32 v32, 0x3f3bfb3b, v30, -v32
	v_fma_f32 v33, 0x3f3bfb3b, v31, -v33
	;; [unrolled: 1-line block ×4, first 2 shown]
	v_dual_fmamk_f32 v30, v22, 0xbeae86e6, v34 :: v_dual_fmamk_f32 v31, v23, 0xbeae86e6, v35
	v_fma_f32 v26, 0xbf5ff5aa, v26, -v34
	v_fma_f32 v28, 0xbf5ff5aa, v28, -v35
	;; [unrolled: 1-line block ×4, first 2 shown]
	v_dual_add_f32 v81, v24, v21 :: v_dual_add_f32 v82, v25, v27
	v_dual_add_f32 v24, v32, v21 :: v_dual_add_f32 v25, v33, v27
	v_add_f32_e32 v29, v29, v21
	v_add_f32_e32 v27, v18, v27
	v_dual_fmac_f32 v30, 0xbee1c552, v19 :: v_dual_fmac_f32 v31, 0xbee1c552, v20
	v_dual_fmac_f32 v26, 0xbee1c552, v19 :: v_dual_fmac_f32 v35, 0xbee1c552, v20
	v_fmac_f32_e32 v34, 0xbee1c552, v19
	v_fmac_f32_e32 v28, 0xbee1c552, v20
	s_delay_alu instid0(VALU_DEP_4) | instskip(NEXT) | instid1(VALU_DEP_4)
	v_dual_add_f32 v18, v31, v81 :: v_dual_sub_f32 v19, v82, v30
	v_add_f32_e32 v20, v35, v29
	s_delay_alu instid0(VALU_DEP_3)
	v_dual_sub_f32 v21, v27, v34 :: v_dual_sub_f32 v22, v24, v28
	v_dual_add_f32 v23, v26, v25 :: v_dual_add_f32 v24, v28, v24
	v_sub_f32_e32 v25, v25, v26
	v_sub_f32_e32 v26, v29, v35
	v_add_f32_e32 v27, v34, v27
	v_dual_sub_f32 v28, v81, v31 :: v_dual_add_f32 v29, v30, v82
	v_add_f32_e32 v30, v83, v37
	v_dual_add_f32 v31, v87, v38 :: v_dual_add_f32 v34, v88, v91
	v_dual_add_f32 v35, v85, v36 :: v_dual_sub_f32 v32, v83, v37
	v_sub_f32_e32 v33, v87, v38
	v_dual_sub_f32 v37, v88, v91 :: v_dual_sub_f32 v36, v85, v36
	v_dual_add_f32 v38, v89, v90 :: v_dual_add_f32 v81, v86, v39
	v_dual_sub_f32 v82, v90, v89 :: v_dual_sub_f32 v39, v39, v86
	v_dual_add_f32 v83, v34, v30 :: v_dual_add_f32 v84, v35, v31
	v_dual_sub_f32 v85, v34, v30 :: v_dual_sub_f32 v86, v35, v31
	s_delay_alu instid0(VALU_DEP_4)
	v_dual_sub_f32 v30, v30, v38 :: v_dual_sub_f32 v31, v31, v81
	v_dual_sub_f32 v34, v38, v34 :: v_dual_sub_f32 v35, v81, v35
	v_dual_add_f32 v87, v82, v37 :: v_dual_add_f32 v88, v39, v36
	v_dual_sub_f32 v89, v82, v37 :: v_dual_sub_f32 v90, v39, v36
	v_dual_sub_f32 v37, v37, v32 :: v_dual_add_f32 v38, v38, v83
	v_dual_add_f32 v81, v81, v84 :: v_dual_sub_f32 v36, v36, v33
	v_dual_sub_f32 v82, v32, v82 :: v_dual_sub_f32 v39, v33, v39
	v_dual_add_f32 v32, v87, v32 :: v_dual_add_f32 v33, v88, v33
	s_delay_alu instid0(VALU_DEP_3)
	v_dual_add_f32 v0, v0, v38 :: v_dual_add_f32 v1, v1, v81
	v_dual_mul_f32 v30, 0x3f4a47b2, v30 :: v_dual_mul_f32 v31, 0x3f4a47b2, v31
	v_dual_mul_f32 v83, 0x3d64c772, v34 :: v_dual_mul_f32 v84, 0x3d64c772, v35
	;; [unrolled: 1-line block ×4, first 2 shown]
	v_dual_fmamk_f32 v38, v38, 0xbf955555, v0 :: v_dual_fmamk_f32 v81, v81, 0xbf955555, v1
	v_dual_fmamk_f32 v34, v34, 0x3d64c772, v30 :: v_dual_fmamk_f32 v35, v35, 0x3d64c772, v31
	v_fma_f32 v83, 0x3f3bfb3b, v85, -v83
	v_fma_f32 v84, 0x3f3bfb3b, v86, -v84
	;; [unrolled: 1-line block ×4, first 2 shown]
	v_dual_fmamk_f32 v85, v82, 0xbeae86e6, v87 :: v_dual_fmamk_f32 v86, v39, 0xbeae86e6, v88
	v_fma_f32 v37, 0xbf5ff5aa, v37, -v87
	v_fma_f32 v36, 0xbf5ff5aa, v36, -v88
	;; [unrolled: 1-line block ×4, first 2 shown]
	v_dual_add_f32 v87, v34, v38 :: v_dual_add_f32 v88, v35, v81
	v_dual_add_f32 v83, v83, v38 :: v_dual_add_f32 v84, v84, v81
	v_dual_add_f32 v38, v30, v38 :: v_dual_add_f32 v81, v31, v81
	v_dual_fmac_f32 v85, 0xbee1c552, v32 :: v_dual_fmac_f32 v86, 0xbee1c552, v33
	v_fmac_f32_e32 v37, 0xbee1c552, v32
	v_dual_fmac_f32 v39, 0xbee1c552, v33 :: v_dual_fmac_f32 v82, 0xbee1c552, v32
	v_fmac_f32_e32 v36, 0xbee1c552, v33
	s_delay_alu instid0(VALU_DEP_4) | instskip(NEXT) | instid1(VALU_DEP_3)
	v_dual_add_f32 v30, v86, v87 :: v_dual_sub_f32 v31, v88, v85
	v_add_f32_e32 v32, v39, v38
	s_delay_alu instid0(VALU_DEP_3)
	v_dual_sub_f32 v33, v81, v82 :: v_dual_sub_f32 v34, v83, v36
	v_dual_add_f32 v35, v37, v84 :: v_dual_add_f32 v36, v36, v83
	v_dual_sub_f32 v37, v84, v37 :: v_dual_sub_f32 v38, v38, v39
	v_add_f32_e32 v39, v82, v81
	v_dual_sub_f32 v81, v87, v86 :: v_dual_add_f32 v82, v85, v88
	ds_store_2addr_b64 v211, v[2:3], v[4:5] offset1:24
	ds_store_2addr_b64 v211, v[6:7], v[8:9] offset0:48 offset1:72
	ds_store_2addr_b64 v211, v[10:11], v[12:13] offset0:96 offset1:120
	ds_store_b64 v211, v[14:15] offset:1152
	ds_store_2addr_b64 v212, v[16:17], v[18:19] offset1:24
	ds_store_2addr_b64 v212, v[20:21], v[22:23] offset0:48 offset1:72
	ds_store_2addr_b64 v212, v[24:25], v[26:27] offset0:96 offset1:120
	ds_store_b64 v212, v[28:29] offset:1152
	;; [unrolled: 4-line block ×3, first 2 shown]
	global_wb scope:SCOPE_SE
	s_wait_dscnt 0x0
	s_barrier_signal -1
	s_barrier_wait -1
	global_inv scope:SCOPE_SE
	ds_load_2addr_b64 v[0:3], v169 offset0:112 offset1:168
	ds_load_2addr_b64 v[4:7], v76 offset0:80 offset1:136
	;; [unrolled: 1-line block ×4, first 2 shown]
	ds_load_2addr_b64 v[16:19], v169 offset1:56
	ds_load_2addr_b64 v[20:23], v77 offset0:16 offset1:72
	ds_load_2addr_b64 v[24:27], v80 offset0:112 offset1:168
	;; [unrolled: 1-line block ×5, first 2 shown]
	ds_load_b64 v[80:81], v169 offset:8960
	s_wait_dscnt 0xa
	v_mul_f32_e32 v82, v41, v3
	s_wait_dscnt 0x8
	v_mul_f32_e32 v83, v65, v11
	v_mul_f32_e32 v65, v65, v10
	s_delay_alu instid0(VALU_DEP_3) | instskip(SKIP_4) | instid1(VALU_DEP_3)
	v_fmac_f32_e32 v82, v40, v2
	v_dual_mul_f32 v2, v41, v2 :: v_dual_mul_f32 v41, v43, v5
	v_mul_f32_e32 v43, v43, v4
	s_wait_dscnt 0x7
	v_dual_fmac_f32 v83, v64, v10 :: v_dual_mul_f32 v10, v67, v12
	v_fma_f32 v2, v40, v3, -v2
	v_fmac_f32_e32 v41, v42, v4
	v_fma_f32 v3, v42, v5, -v43
	v_fma_f32 v4, v64, v11, -v65
	v_mul_f32_e32 v5, v67, v13
	s_wait_dscnt 0x5
	v_mul_f32_e32 v11, v69, v23
	v_mul_f32_e32 v40, v69, v22
	s_wait_dscnt 0x4
	v_mul_f32_e32 v42, v71, v25
	v_fma_f32 v10, v66, v13, -v10
	v_fmac_f32_e32 v5, v66, v12
	v_fmac_f32_e32 v11, v68, v22
	v_fma_f32 v12, v68, v23, -v40
	v_fmac_f32_e32 v42, v70, v24
	s_wait_dscnt 0x3
	v_dual_mul_f32 v13, v71, v24 :: v_dual_mul_f32 v22, v49, v29
	v_mul_f32_e32 v24, v51, v7
	v_dual_mul_f32 v40, v51, v6 :: v_dual_mul_f32 v23, v49, v28
	s_delay_alu instid0(VALU_DEP_3) | instskip(NEXT) | instid1(VALU_DEP_4)
	v_fma_f32 v13, v70, v25, -v13
	v_fmac_f32_e32 v22, v48, v28
	s_delay_alu instid0(VALU_DEP_4) | instskip(NEXT) | instid1(VALU_DEP_4)
	v_fmac_f32_e32 v24, v50, v6
	v_fma_f32 v25, v50, v7, -v40
	s_wait_dscnt 0x2
	v_mul_f32_e32 v28, v61, v33
	v_dual_mul_f32 v6, v61, v32 :: v_dual_mul_f32 v7, v63, v14
	s_wait_dscnt 0x1
	v_mul_f32_e32 v40, v45, v37
	v_fma_f32 v23, v48, v29, -v23
	v_fmac_f32_e32 v28, v60, v32
	v_fma_f32 v32, v60, v33, -v6
	v_fma_f32 v33, v62, v15, -v7
	v_fmac_f32_e32 v40, v44, v36
	v_mul_f32_e32 v6, v45, v36
	v_mul_f32_e32 v36, v47, v27
	;; [unrolled: 1-line block ×5, first 2 shown]
	v_fma_f32 v37, v44, v37, -v6
	v_fmac_f32_e32 v36, v46, v26
	v_fma_f32 v26, v46, v27, -v7
	v_mul_f32_e32 v6, v55, v8
	v_mul_f32_e32 v44, v57, v35
	;; [unrolled: 1-line block ×3, first 2 shown]
	v_fmac_f32_e32 v29, v62, v14
	v_mul_f32_e32 v14, v53, v30
	v_fma_f32 v46, v54, v9, -v6
	v_fmac_f32_e32 v44, v56, v34
	v_fma_f32 v34, v56, v35, -v7
	v_dual_mul_f32 v6, v59, v20 :: v_dual_mul_f32 v35, v73, v39
	v_mul_f32_e32 v7, v73, v38
	v_fmac_f32_e32 v43, v52, v30
	v_fma_f32 v30, v52, v31, -v14
	v_mul_f32_e32 v31, v55, v9
	v_fma_f32 v48, v58, v21, -v6
	v_fmac_f32_e32 v35, v72, v38
	v_fma_f32 v38, v72, v39, -v7
	v_add_f32_e32 v6, v82, v42
	v_add_f32_e32 v7, v2, v13
	v_dual_sub_f32 v2, v2, v13 :: v_dual_add_f32 v9, v41, v11
	v_add_f32_e32 v13, v3, v12
	v_mul_f32_e32 v45, v59, v21
	v_sub_f32_e32 v3, v3, v12
	v_add_f32_e32 v12, v83, v5
	v_add_f32_e32 v14, v4, v10
	v_sub_f32_e32 v4, v10, v4
	v_add_f32_e32 v10, v9, v6
	v_add_f32_e32 v15, v13, v7
	v_dual_fmac_f32 v45, v58, v20 :: v_dual_sub_f32 v20, v9, v6
	v_dual_sub_f32 v21, v13, v7 :: v_dual_sub_f32 v6, v6, v12
	v_sub_f32_e32 v7, v7, v14
	v_sub_f32_e32 v9, v12, v9
	v_add_f32_e32 v10, v12, v10
	v_add_f32_e32 v12, v14, v15
	v_sub_f32_e32 v13, v14, v13
	v_dual_sub_f32 v49, v4, v3 :: v_dual_sub_f32 v14, v3, v2
	v_dual_mul_f32 v6, 0x3f4a47b2, v6 :: v_dual_sub_f32 v11, v41, v11
	v_add_f32_e32 v41, v4, v3
	v_add_f32_e32 v3, v17, v12
	v_mul_f32_e32 v7, 0x3f4a47b2, v7
	v_mul_f32_e32 v17, 0x3d64c772, v13
	v_dual_sub_f32 v5, v5, v83 :: v_dual_sub_f32 v4, v2, v4
	s_delay_alu instid0(VALU_DEP_4) | instskip(NEXT) | instid1(VALU_DEP_4)
	v_fmamk_f32 v12, v12, 0xbf955555, v3
	v_fmamk_f32 v13, v13, 0x3d64c772, v7
	v_fma_f32 v7, 0xbf3bfb3b, v21, -v7
	s_delay_alu instid0(VALU_DEP_4)
	v_add_f32_e32 v27, v5, v11
	v_add_f32_e32 v15, v41, v2
	;; [unrolled: 1-line block ×3, first 2 shown]
	v_mul_f32_e32 v16, 0x3d64c772, v9
	v_add_f32_e32 v50, v7, v12
	v_fmac_f32_e32 v31, v54, v8
	s_wait_dscnt 0x0
	v_dual_mul_f32 v8, v75, v80 :: v_dual_mul_f32 v41, 0x3f08b237, v49
	v_mul_f32_e32 v49, 0xbf5ff5aa, v14
	v_fmamk_f32 v10, v10, 0xbf955555, v2
	v_fmamk_f32 v9, v9, 0x3d64c772, v6
	s_delay_alu instid0(VALU_DEP_4)
	v_fma_f32 v39, v74, v81, -v8
	v_sub_f32_e32 v8, v82, v42
	v_sub_f32_e32 v42, v5, v11
	v_fma_f32 v16, 0x3f3bfb3b, v20, -v16
	v_fma_f32 v17, 0x3f3bfb3b, v21, -v17
	;; [unrolled: 1-line block ×3, first 2 shown]
	v_sub_f32_e32 v5, v8, v5
	v_sub_f32_e32 v11, v11, v8
	v_dual_add_f32 v8, v27, v8 :: v_dual_mul_f32 v27, 0x3f08b237, v42
	v_fmamk_f32 v21, v4, 0xbeae86e6, v41
	v_fma_f32 v14, 0xbf5ff5aa, v14, -v41
	v_fma_f32 v41, 0x3eae86e6, v4, -v49
	v_mul_f32_e32 v42, 0xbf5ff5aa, v11
	v_fmamk_f32 v20, v5, 0xbeae86e6, v27
	v_fma_f32 v11, 0xbf5ff5aa, v11, -v27
	v_add_f32_e32 v49, v13, v12
	v_dual_add_f32 v13, v16, v10 :: v_dual_add_f32 v16, v17, v12
	v_add_f32_e32 v17, v6, v10
	v_fmac_f32_e32 v41, 0xbee1c552, v15
	v_fma_f32 v27, 0x3eae86e6, v5, -v42
	v_add_f32_e32 v42, v9, v10
	v_dual_fmac_f32 v20, 0xbee1c552, v8 :: v_dual_fmac_f32 v21, 0xbee1c552, v15
	v_fmac_f32_e32 v14, 0xbee1c552, v15
	v_dual_sub_f32 v12, v17, v41 :: v_dual_fmac_f32 v11, 0xbee1c552, v8
	s_delay_alu instid0(VALU_DEP_3) | instskip(NEXT) | instid1(VALU_DEP_4)
	v_dual_fmac_f32 v27, 0xbee1c552, v8 :: v_dual_add_f32 v4, v21, v42
	v_sub_f32_e32 v5, v49, v20
	v_add_f32_e32 v6, v41, v17
	s_delay_alu instid0(VALU_DEP_4)
	v_dual_sub_f32 v8, v13, v14 :: v_dual_add_f32 v9, v11, v16
	v_dual_add_f32 v10, v14, v13 :: v_dual_sub_f32 v11, v16, v11
	v_sub_f32_e32 v14, v42, v21
	v_dual_add_f32 v15, v20, v49 :: v_dual_add_f32 v16, v22, v36
	v_dual_add_f32 v17, v23, v26 :: v_dual_sub_f32 v20, v22, v36
	v_dual_sub_f32 v21, v23, v26 :: v_dual_add_f32 v22, v24, v40
	v_add_f32_e32 v23, v25, v37
	v_dual_mul_f32 v47, v75, v81 :: v_dual_sub_f32 v24, v24, v40
	v_sub_f32_e32 v7, v50, v27
	v_add_f32_e32 v13, v27, v50
	v_sub_f32_e32 v25, v25, v37
	v_add_f32_e32 v26, v28, v29
	v_dual_add_f32 v27, v32, v33 :: v_dual_sub_f32 v28, v29, v28
	v_sub_f32_e32 v29, v33, v32
	v_dual_add_f32 v32, v22, v16 :: v_dual_add_f32 v33, v23, v17
	v_dual_sub_f32 v36, v22, v16 :: v_dual_sub_f32 v37, v23, v17
	s_delay_alu instid0(VALU_DEP_4)
	v_dual_sub_f32 v40, v16, v26 :: v_dual_sub_f32 v41, v17, v27
	v_dual_sub_f32 v22, v26, v22 :: v_dual_sub_f32 v23, v27, v23
	v_dual_add_f32 v16, v28, v24 :: v_dual_add_f32 v17, v29, v25
	v_dual_sub_f32 v42, v28, v24 :: v_dual_sub_f32 v49, v29, v25
	v_sub_f32_e32 v24, v24, v20
	v_dual_add_f32 v26, v26, v32 :: v_dual_add_f32 v27, v27, v33
	v_dual_fmac_f32 v47, v74, v80 :: v_dual_mul_f32 v32, 0x3d64c772, v22
	v_dual_sub_f32 v28, v20, v28 :: v_dual_sub_f32 v29, v21, v29
	v_dual_sub_f32 v25, v25, v21 :: v_dual_add_f32 v20, v16, v20
	s_delay_alu instid0(VALU_DEP_4)
	v_dual_add_f32 v21, v17, v21 :: v_dual_add_f32 v16, v18, v26
	v_dual_add_f32 v17, v19, v27 :: v_dual_mul_f32 v18, 0x3f4a47b2, v40
	v_mul_f32_e32 v19, 0x3f4a47b2, v41
	v_mul_f32_e32 v33, 0x3d64c772, v23
	v_dual_mul_f32 v40, 0x3f08b237, v42 :: v_dual_mul_f32 v41, 0x3f08b237, v49
	v_dual_mul_f32 v42, 0xbf5ff5aa, v24 :: v_dual_mul_f32 v49, 0xbf5ff5aa, v25
	v_dual_fmamk_f32 v26, v26, 0xbf955555, v16 :: v_dual_fmamk_f32 v27, v27, 0xbf955555, v17
	v_dual_fmamk_f32 v22, v22, 0x3d64c772, v18 :: v_dual_fmamk_f32 v23, v23, 0x3d64c772, v19
	v_fma_f32 v32, 0x3f3bfb3b, v36, -v32
	v_fma_f32 v33, 0x3f3bfb3b, v37, -v33
	;; [unrolled: 1-line block ×4, first 2 shown]
	v_dual_fmamk_f32 v36, v28, 0xbeae86e6, v40 :: v_dual_fmamk_f32 v37, v29, 0xbeae86e6, v41
	v_fma_f32 v40, 0xbf5ff5aa, v24, -v40
	v_fma_f32 v24, 0xbf5ff5aa, v25, -v41
	;; [unrolled: 1-line block ×4, first 2 shown]
	v_dual_add_f32 v41, v22, v26 :: v_dual_add_f32 v42, v23, v27
	v_dual_add_f32 v25, v32, v26 :: v_dual_add_f32 v32, v33, v27
	v_add_f32_e32 v27, v19, v27
	v_dual_fmac_f32 v37, 0xbee1c552, v21 :: v_dual_fmac_f32 v40, 0xbee1c552, v20
	v_fmac_f32_e32 v28, 0xbee1c552, v20
	v_fmac_f32_e32 v24, 0xbee1c552, v21
	v_add_f32_e32 v26, v18, v26
	v_dual_fmac_f32 v36, 0xbee1c552, v20 :: v_dual_fmac_f32 v29, 0xbee1c552, v21
	s_delay_alu instid0(VALU_DEP_4) | instskip(NEXT) | instid1(VALU_DEP_4)
	v_dual_add_f32 v18, v37, v41 :: v_dual_sub_f32 v21, v27, v28
	v_sub_f32_e32 v22, v25, v24
	v_add_f32_e32 v23, v40, v32
	v_add_f32_e32 v24, v24, v25
	v_sub_f32_e32 v25, v32, v40
	v_dual_add_f32 v27, v28, v27 :: v_dual_sub_f32 v28, v41, v37
	v_add_f32_e32 v32, v43, v47
	v_add_f32_e32 v33, v30, v39
	v_sub_f32_e32 v30, v30, v39
	v_add_f32_e32 v37, v31, v35
	v_add_f32_e32 v39, v46, v38
	v_dual_sub_f32 v19, v42, v36 :: v_dual_add_f32 v20, v29, v26
	v_dual_sub_f32 v26, v26, v29 :: v_dual_add_f32 v29, v36, v42
	v_sub_f32_e32 v36, v43, v47
	v_sub_f32_e32 v31, v31, v35
	v_dual_sub_f32 v35, v46, v38 :: v_dual_add_f32 v38, v44, v45
	v_add_f32_e32 v40, v34, v48
	v_dual_sub_f32 v41, v45, v44 :: v_dual_sub_f32 v34, v48, v34
	v_dual_add_f32 v42, v37, v32 :: v_dual_add_f32 v43, v39, v33
	v_dual_sub_f32 v44, v37, v32 :: v_dual_sub_f32 v45, v39, v33
	s_delay_alu instid0(VALU_DEP_4)
	v_dual_sub_f32 v32, v32, v38 :: v_dual_sub_f32 v33, v33, v40
	v_sub_f32_e32 v37, v38, v37
	v_sub_f32_e32 v39, v40, v39
	v_add_f32_e32 v46, v41, v31
	v_add_f32_e32 v47, v34, v35
	v_sub_f32_e32 v48, v41, v31
	v_sub_f32_e32 v49, v34, v35
	v_dual_sub_f32 v31, v31, v36 :: v_dual_add_f32 v38, v38, v42
	v_dual_add_f32 v40, v40, v43 :: v_dual_sub_f32 v35, v35, v30
	v_dual_sub_f32 v41, v36, v41 :: v_dual_sub_f32 v34, v30, v34
	v_add_f32_e32 v36, v46, v36
	v_add_f32_e32 v30, v47, v30
	s_delay_alu instid0(VALU_DEP_4)
	v_dual_add_f32 v0, v0, v38 :: v_dual_add_f32 v1, v1, v40
	v_dual_mul_f32 v32, 0x3f4a47b2, v32 :: v_dual_mul_f32 v33, 0x3f4a47b2, v33
	v_dual_mul_f32 v42, 0x3d64c772, v37 :: v_dual_mul_f32 v43, 0x3d64c772, v39
	;; [unrolled: 1-line block ×3, first 2 shown]
	v_mul_f32_e32 v48, 0xbf5ff5aa, v31
	v_mul_f32_e32 v49, 0xbf5ff5aa, v35
	v_fmamk_f32 v38, v38, 0xbf955555, v0
	v_fmamk_f32 v40, v40, 0xbf955555, v1
	v_fmamk_f32 v37, v37, 0x3d64c772, v32
	v_fmamk_f32 v39, v39, 0x3d64c772, v33
	v_fma_f32 v42, 0x3f3bfb3b, v44, -v42
	v_fma_f32 v43, 0x3f3bfb3b, v45, -v43
	;; [unrolled: 1-line block ×4, first 2 shown]
	v_dual_fmamk_f32 v44, v41, 0xbeae86e6, v46 :: v_dual_fmamk_f32 v45, v34, 0xbeae86e6, v47
	v_fma_f32 v46, 0xbf5ff5aa, v31, -v46
	v_fma_f32 v47, 0xbf5ff5aa, v35, -v47
	;; [unrolled: 1-line block ×4, first 2 shown]
	v_dual_add_f32 v49, v37, v38 :: v_dual_add_f32 v50, v39, v40
	v_add_f32_e32 v37, v42, v38
	v_dual_add_f32 v39, v43, v40 :: v_dual_add_f32 v38, v32, v38
	v_add_f32_e32 v40, v33, v40
	v_dual_fmac_f32 v44, 0xbee1c552, v36 :: v_dual_fmac_f32 v45, 0xbee1c552, v30
	v_fmac_f32_e32 v46, 0xbee1c552, v36
	v_dual_fmac_f32 v48, 0xbee1c552, v30 :: v_dual_fmac_f32 v41, 0xbee1c552, v36
	s_delay_alu instid0(VALU_DEP_3) | instskip(NEXT) | instid1(VALU_DEP_2)
	v_dual_fmac_f32 v47, 0xbee1c552, v30 :: v_dual_add_f32 v30, v45, v49
	v_dual_sub_f32 v31, v50, v44 :: v_dual_add_f32 v32, v48, v38
	s_delay_alu instid0(VALU_DEP_2)
	v_dual_sub_f32 v33, v40, v41 :: v_dual_sub_f32 v34, v37, v47
	v_dual_add_f32 v35, v46, v39 :: v_dual_add_f32 v36, v47, v37
	v_dual_sub_f32 v37, v39, v46 :: v_dual_sub_f32 v38, v38, v48
	v_add_f32_e32 v39, v41, v40
	v_dual_sub_f32 v40, v49, v45 :: v_dual_add_f32 v41, v44, v50
	ds_store_b64 v169, v[4:5] offset:1344
	ds_store_b64 v169, v[6:7] offset:2688
	;; [unrolled: 1-line block ×6, first 2 shown]
	ds_store_2addr_b64 v169, v[2:3], v[16:17] offset1:56
	ds_store_b64 v169, v[22:23] offset:4480
	ds_store_b64 v169, v[24:25] offset:5824
	;; [unrolled: 1-line block ×6, first 2 shown]
	ds_store_2addr_b64 v78, v[18:19], v[30:31] offset0:96 offset1:152
	ds_store_b64 v169, v[32:33] offset:3584
	ds_store_b64 v169, v[34:35] offset:4928
	ds_store_b64 v169, v[36:37] offset:6272
	ds_store_b64 v169, v[38:39] offset:7616
	ds_store_b64 v169, v[40:41] offset:8960
	global_wb scope:SCOPE_SE
	s_wait_dscnt 0x0
	s_barrier_signal -1
	s_barrier_wait -1
	global_inv scope:SCOPE_SE
	ds_load_2addr_b64 v[0:3], v169 offset1:56
	v_mad_co_u64_u32 v[20:21], null, s6, v134, 0
	v_mad_co_u64_u32 v[26:27], null, s4, v171, 0
	s_wait_dscnt 0x0
	v_mul_f32_e32 v4, v162, v1
	v_mul_f32_e32 v16, v160, v3
	;; [unrolled: 1-line block ×3, first 2 shown]
	s_delay_alu instid0(VALU_DEP_3) | instskip(SKIP_1) | instid1(VALU_DEP_4)
	v_fmac_f32_e32 v4, v161, v0
	v_mul_f32_e32 v0, v162, v0
	v_fmac_f32_e32 v16, v159, v2
	s_delay_alu instid0(VALU_DEP_3) | instskip(NEXT) | instid1(VALU_DEP_3)
	v_cvt_f64_f32_e32 v[8:9], v4
	v_fma_f32 v0, v161, v1, -v0
	ds_load_2addr_b64 v[4:7], v79 offset0:76 offset1:132
	v_cvt_f64_f32_e32 v[16:17], v16
	v_cvt_f64_f32_e32 v[0:1], v0
	s_wait_dscnt 0x0
	v_mul_f32_e32 v12, v158, v5
	v_mul_f32_e32 v2, v156, v7
	s_delay_alu instid0(VALU_DEP_2) | instskip(SKIP_1) | instid1(VALU_DEP_3)
	v_fmac_f32_e32 v12, v157, v4
	v_mul_f32_e32 v4, v158, v4
	v_fmac_f32_e32 v2, v155, v6
	s_delay_alu instid0(VALU_DEP_3) | instskip(NEXT) | instid1(VALU_DEP_2)
	v_cvt_f64_f32_e32 v[12:13], v12
	v_cvt_f64_f32_e32 v[22:23], v2
	s_wait_alu 0xfffe
	v_mul_f64_e32 v[8:9], s[2:3], v[8:9]
	v_mul_f64_e32 v[16:17], s[2:3], v[16:17]
	v_mul_f64_e32 v[10:11], s[2:3], v[0:1]
	v_fma_f32 v0, v157, v5, -v4
	v_fma_f32 v1, v159, v3, -v14
	v_dual_mul_f32 v3, v156, v6 :: v_dual_mov_b32 v4, v21
	v_mov_b32_e32 v21, v27
	s_delay_alu instid0(VALU_DEP_4) | instskip(NEXT) | instid1(VALU_DEP_4)
	v_cvt_f64_f32_e32 v[14:15], v0
	v_cvt_f64_f32_e32 v[18:19], v1
	s_delay_alu instid0(VALU_DEP_4)
	v_fma_f32 v0, v155, v7, -v3
	v_mad_co_u64_u32 v[27:28], null, s7, v134, v[4:5]
	ds_load_2addr_b64 v[4:7], v79 offset0:188 offset1:244
	v_cvt_f64_f32_e32 v[24:25], v0
	ds_load_2addr_b64 v[0:3], v169 offset0:112 offset1:168
	v_mul_f64_e32 v[12:13], s[2:3], v[12:13]
	v_mad_co_u64_u32 v[28:29], null, s5, v171, v[21:22]
	v_mul_f64_e32 v[22:23], s[2:3], v[22:23]
	s_wait_dscnt 0x1
	v_dual_mov_b32 v21, v27 :: v_dual_mul_f32 v30, v152, v5
	v_cvt_f32_f64_e32 v8, v[8:9]
	s_wait_dscnt 0x0
	v_mul_f32_e32 v32, v150, v2
	v_cvt_f32_f64_e32 v16, v[16:17]
	v_dual_mov_b32 v27, v28 :: v_dual_mul_f32 v28, v154, v1
	v_fmac_f32_e32 v30, v151, v4
	v_cvt_f32_f64_e32 v9, v[10:11]
	v_lshlrev_b64_e32 v[10:11], 3, v[20:21]
	s_delay_alu instid0(VALU_DEP_4)
	v_lshlrev_b64_e32 v[20:21], 3, v[26:27]
	v_fmac_f32_e32 v28, v153, v0
	v_mul_f32_e32 v0, v154, v0
	v_mul_f64_e32 v[14:15], s[2:3], v[14:15]
	v_mul_f64_e32 v[18:19], s[2:3], v[18:19]
	v_add_co_u32 v64, s0, s8, v10
	s_delay_alu instid0(VALU_DEP_4) | instskip(SKIP_3) | instid1(VALU_DEP_4)
	v_fma_f32 v0, v153, v1, -v0
	v_dual_mul_f32 v1, v152, v4 :: v_dual_mul_f32 v4, v150, v3
	v_mul_f64_e32 v[24:25], s[2:3], v[24:25]
	v_cvt_f64_f32_e32 v[26:27], v28
	v_cvt_f64_f32_e32 v[28:29], v0
	s_delay_alu instid0(VALU_DEP_4)
	v_fma_f32 v0, v151, v5, -v1
	v_fmac_f32_e32 v4, v149, v2
	v_fma_f32 v1, v149, v3, -v32
	v_mul_f32_e32 v2, v148, v7
	v_mul_f32_e32 v3, v148, v6
	v_cvt_f64_f32_e32 v[32:33], v0
	v_cvt_f64_f32_e32 v[30:31], v30
	;; [unrolled: 1-line block ×3, first 2 shown]
	v_fmac_f32_e32 v2, v147, v6
	v_fma_f32 v0, v147, v7, -v3
	v_cvt_f64_f32_e32 v[36:37], v1
	s_wait_alu 0xf1ff
	v_add_co_ci_u32_e64 v65, s0, s9, v11, s0
	v_cvt_f64_f32_e32 v[10:11], v2
	v_cvt_f64_f32_e32 v[38:39], v0
	ds_load_2addr_b64 v[0:3], v78 offset0:96 offset1:152
	ds_load_2addr_b64 v[4:7], v77 offset0:44 offset1:100
	v_cvt_f32_f64_e32 v12, v[12:13]
	v_cvt_f32_f64_e32 v22, v[22:23]
	v_add_co_u32 v20, s0, v64, v20
	s_wait_alu 0xf1ff
	v_add_co_ci_u32_e64 v21, s0, v65, v21, s0
	s_mul_u64 s[0:1], s[4:5], 0x24c
	s_wait_alu 0xfffe
	s_lshl_b64 s[6:7], s[0:1], 3
	v_cvt_f32_f64_e32 v13, v[14:15]
	v_cvt_f32_f64_e32 v17, v[18:19]
	s_wait_alu 0xfffe
	v_add_co_u32 v14, s0, v20, s6
	s_wait_alu 0xf1ff
	v_add_co_ci_u32_e64 v15, s0, s7, v21, s0
	s_movk_i32 s0, 0xfdec
	v_cvt_f32_f64_e32 v23, v[24:25]
	s_wait_dscnt 0x1
	v_mul_f32_e32 v40, v140, v1
	s_wait_dscnt 0x0
	v_mul_f32_e32 v42, v146, v5
	s_mov_b32 s1, -1
	v_mul_f32_e32 v44, v144, v2
	s_wait_alu 0xfffe
	s_mul_u64 s[0:1], s[4:5], s[0:1]
	v_fmac_f32_e32 v40, v139, v0
	v_mul_f32_e32 v0, v140, v0
	v_fmac_f32_e32 v42, v145, v4
	s_wait_alu 0xfffe
	s_lshl_b64 s[8:9], s[0:1], 3
	v_mul_f64_e32 v[24:25], s[2:3], v[26:27]
	s_wait_alu 0xfffe
	v_add_co_u32 v18, s0, v14, s8
	v_fma_f32 v0, v139, v1, -v0
	v_dual_mul_f32 v1, v146, v4 :: v_dual_mul_f32 v4, v144, v3
	v_mul_f64_e32 v[26:27], s[2:3], v[28:29]
	v_mul_f64_e32 v[28:29], s[2:3], v[30:31]
	;; [unrolled: 1-line block ×4, first 2 shown]
	v_fmac_f32_e32 v4, v143, v2
	v_mul_f64_e32 v[34:35], s[2:3], v[36:37]
	v_mul_f64_e32 v[36:37], s[2:3], v[38:39]
	v_cvt_f64_f32_e32 v[38:39], v40
	v_cvt_f64_f32_e32 v[40:41], v0
	v_fma_f32 v0, v145, v5, -v1
	v_fma_f32 v1, v143, v3, -v44
	v_mul_f32_e32 v2, v142, v7
	v_mul_f32_e32 v3, v142, v6
	s_wait_alu 0xf1ff
	v_add_co_ci_u32_e64 v19, s0, s9, v15, s0
	v_cvt_f64_f32_e32 v[46:47], v4
	v_cvt_f64_f32_e32 v[44:45], v0
	v_fmac_f32_e32 v2, v141, v6
	v_fma_f32 v0, v141, v7, -v3
	v_add_co_u32 v4, s0, v18, s6
	v_mul_f64_e32 v[10:11], s[2:3], v[10:11]
	s_wait_alu 0xf1ff
	v_add_co_ci_u32_e64 v5, s0, s7, v19, s0
	s_clause 0x3
	global_store_b64 v[20:21], v[8:9], off
	global_store_b64 v[14:15], v[12:13], off
	;; [unrolled: 1-line block ×4, first 2 shown]
	v_cvt_f64_f32_e32 v[48:49], v1
	v_cvt_f64_f32_e32 v[50:51], v2
	;; [unrolled: 1-line block ×3, first 2 shown]
	ds_load_2addr_b64 v[0:3], v76 offset0:80 offset1:136
	v_add_nc_u32_e32 v13, 0x2000, v169
	v_cvt_f64_f32_e32 v[42:43], v42
	v_add_co_u32 v18, s0, v4, s8
	s_wait_alu 0xf1ff
	v_add_co_ci_u32_e64 v19, s0, s9, v5, s0
	ds_load_2addr_b64 v[4:7], v77 offset0:156 offset1:212
	v_cvt_f32_f64_e32 v16, v[24:25]
	v_add_co_u32 v22, s0, v18, s6
	v_cvt_f32_f64_e32 v20, v[28:29]
	v_cvt_f32_f64_e32 v21, v[30:31]
	;; [unrolled: 1-line block ×3, first 2 shown]
	s_wait_alu 0xf1ff
	v_add_co_ci_u32_e64 v23, s0, s7, v19, s0
	v_cvt_f32_f64_e32 v25, v[34:35]
	v_mul_f64_e32 v[30:31], s[2:3], v[38:39]
	v_mul_f64_e32 v[32:33], s[2:3], v[40:41]
	v_cvt_f32_f64_e32 v29, v[36:37]
	s_wait_dscnt 0x1
	v_mul_f32_e32 v12, v138, v1
	v_cvt_f32_f64_e32 v17, v[26:27]
	v_add_co_u32 v26, s0, v22, s8
	s_wait_alu 0xf1ff
	v_add_co_ci_u32_e64 v27, s0, s9, v23, s0
	v_fmac_f32_e32 v12, v137, v0
	v_mul_f64_e32 v[38:39], s[2:3], v[46:47]
	v_mul_f32_e32 v0, v138, v0
	v_mul_f64_e32 v[36:37], s[2:3], v[44:45]
	v_add_co_u32 v62, s0, v26, s6
	v_cvt_f64_f32_e32 v[46:47], v12
	ds_load_2addr_b64 v[12:15], v13 offset0:12 offset1:68
	v_cvt_f32_f64_e32 v28, v[10:11]
	ds_load_2addr_b64 v[8:11], v76 offset0:192 offset1:248
	v_mul_f64_e32 v[40:41], s[2:3], v[48:49]
	s_wait_dscnt 0x2
	v_mul_f32_e32 v48, v133, v5
	v_mul_f32_e32 v49, v133, v4
	v_fma_f32 v0, v137, v1, -v0
	v_mul_f64_e32 v[34:35], s[2:3], v[42:43]
	v_mul_f64_e32 v[42:43], s[2:3], v[50:51]
	v_mul_f32_e32 v50, v136, v3
	v_mul_f32_e32 v51, v136, v2
	v_fmac_f32_e32 v48, v132, v4
	v_fma_f32 v4, v132, v5, -v49
	v_mul_f64_e32 v[44:45], s[2:3], v[52:53]
	v_cvt_f64_f32_e32 v[0:1], v0
	v_mul_f32_e32 v52, v131, v7
	v_mul_f32_e32 v53, v131, v6
	v_fmac_f32_e32 v50, v135, v2
	v_fma_f32 v51, v135, v3, -v51
	v_cvt_f64_f32_e32 v[2:3], v48
	s_wait_dscnt 0x1
	v_mul_f32_e32 v56, v125, v13
	v_cvt_f64_f32_e32 v[4:5], v4
	s_wait_dscnt 0x0
	v_mul_f32_e32 v58, v127, v11
	v_mul_f32_e32 v59, v127, v10
	;; [unrolled: 1-line block ×3, first 2 shown]
	v_fmac_f32_e32 v56, v124, v12
	v_mul_f32_e32 v12, v125, v12
	v_fmac_f32_e32 v58, v126, v10
	v_fma_f32 v59, v126, v11, -v59
	v_dual_mul_f32 v55, v123, v8 :: v_dual_fmac_f32 v52, v130, v6
	s_delay_alu instid0(VALU_DEP_4) | instskip(SKIP_3) | instid1(VALU_DEP_4)
	v_fma_f32 v12, v124, v13, -v12
	v_fma_f32 v53, v130, v7, -v53
	v_mul_f32_e32 v60, v129, v15
	v_dual_mul_f32 v61, v129, v14 :: v_dual_fmac_f32 v54, v122, v8
	v_cvt_f64_f32_e32 v[10:11], v12
	v_cvt_f64_f32_e32 v[12:13], v58
	s_delay_alu instid0(VALU_DEP_4)
	v_fmac_f32_e32 v60, v128, v14
	v_fma_f32 v55, v122, v9, -v55
	v_cvt_f64_f32_e32 v[6:7], v52
	v_cvt_f64_f32_e32 v[8:9], v53
	;; [unrolled: 1-line block ×4, first 2 shown]
	v_fma_f32 v61, v128, v15, -v61
	v_cvt_f64_f32_e32 v[52:53], v54
	v_cvt_f64_f32_e32 v[54:55], v55
	;; [unrolled: 1-line block ×6, first 2 shown]
	v_cvt_f32_f64_e32 v30, v[30:31]
	v_cvt_f32_f64_e32 v31, v[32:33]
	v_mul_f64_e32 v[32:33], s[2:3], v[46:47]
	v_mul_f64_e32 v[0:1], s[2:3], v[0:1]
	v_cvt_f32_f64_e32 v34, v[34:35]
	v_cvt_f32_f64_e32 v35, v[36:37]
	v_mul_f64_e32 v[2:3], s[2:3], v[2:3]
	s_wait_alu 0xf1ff
	v_add_co_ci_u32_e64 v63, s0, s7, v27, s0
	v_mul_f64_e32 v[4:5], s[2:3], v[4:5]
	v_cvt_f32_f64_e32 v42, v[42:43]
	v_cvt_f32_f64_e32 v43, v[44:45]
	v_add_co_u32 v46, s0, v62, s8
	s_wait_alu 0xf1ff
	v_add_co_ci_u32_e64 v47, s0, s9, v63, s0
	v_cvt_f32_f64_e32 v38, v[38:39]
	v_cvt_f32_f64_e32 v39, v[40:41]
	global_store_b64 v[18:19], v[16:17], off
	global_store_b64 v[22:23], v[20:21], off
	;; [unrolled: 1-line block ×5, first 2 shown]
	v_mul_f64_e32 v[12:13], s[2:3], v[12:13]
	v_mul_f64_e32 v[6:7], s[2:3], v[6:7]
	;; [unrolled: 1-line block ×12, first 2 shown]
	v_add_co_u32 v50, s0, v46, s6
	s_wait_alu 0xf1ff
	v_add_co_ci_u32_e64 v51, s0, s7, v47, s0
	v_cvt_f32_f64_e32 v32, v[32:33]
	s_delay_alu instid0(VALU_DEP_3) | instskip(SKIP_1) | instid1(VALU_DEP_3)
	v_add_co_u32 v40, s0, v50, s8
	s_wait_alu 0xf1ff
	v_add_co_ci_u32_e64 v41, s0, s9, v51, s0
	v_cvt_f32_f64_e32 v33, v[0:1]
	s_delay_alu instid0(VALU_DEP_3) | instskip(SKIP_1) | instid1(VALU_DEP_3)
	;; [unrolled: 5-line block ×4, first 2 shown]
	v_add_co_u32 v4, s0, v0, s6
	s_wait_alu 0xf1ff
	v_add_co_ci_u32_e64 v5, s0, s7, v1, s0
	global_store_b64 v[50:51], v[34:35], off
	global_store_b64 v[40:41], v[38:39], off
	;; [unrolled: 1-line block ×5, first 2 shown]
	v_cvt_f32_f64_e32 v12, v[12:13]
	v_cvt_f32_f64_e32 v6, v[6:7]
	;; [unrolled: 1-line block ×3, first 2 shown]
	v_add_co_u32 v8, s0, v4, s8
	v_cvt_f32_f64_e32 v36, v[36:37]
	v_cvt_f32_f64_e32 v37, v[48:49]
	s_wait_alu 0xf1ff
	v_add_co_ci_u32_e64 v9, s0, s9, v5, s0
	v_mad_co_u64_u32 v[48:49], null, s4, v170, 0
	v_add_co_u32 v16, s0, v8, s6
	v_cvt_f32_f64_e32 v18, v[52:53]
	v_cvt_f32_f64_e32 v19, v[54:55]
	s_wait_alu 0xf1ff
	v_add_co_ci_u32_e64 v17, s0, s7, v9, s0
	v_cvt_f32_f64_e32 v44, v[44:45]
	v_cvt_f32_f64_e32 v45, v[10:11]
	;; [unrolled: 1-line block ×5, first 2 shown]
	v_mov_b32_e32 v20, v49
	v_mad_co_u64_u32 v[10:11], null, 0x1c0, s4, v[16:17]
	global_store_b64 v[8:9], v[36:37], off
	global_store_b64 v[16:17], v[6:7], off
	v_mad_co_u64_u32 v[20:21], null, s5, v170, v[20:21]
	v_mad_co_u64_u32 v[21:22], null, 0x1c0, s5, v[11:12]
	v_add_co_u32 v2, s0, v10, s8
	s_delay_alu instid0(VALU_DEP_3) | instskip(NEXT) | instid1(VALU_DEP_3)
	v_mov_b32_e32 v49, v20
	v_mov_b32_e32 v11, v21
	s_delay_alu instid0(VALU_DEP_2) | instskip(SKIP_1) | instid1(VALU_DEP_2)
	v_lshlrev_b64_e32 v[0:1], 3, v[48:49]
	s_wait_alu 0xf1ff
	v_add_co_ci_u32_e64 v3, s0, s9, v11, s0
	s_delay_alu instid0(VALU_DEP_2) | instskip(SKIP_1) | instid1(VALU_DEP_3)
	v_add_co_u32 v4, s0, v64, v0
	s_wait_alu 0xf1ff
	v_add_co_ci_u32_e64 v5, s0, v65, v1, s0
	v_add_co_u32 v0, s0, v2, s6
	s_wait_alu 0xf1ff
	v_add_co_ci_u32_e64 v1, s0, s7, v3, s0
	global_store_b64 v[4:5], v[18:19], off
	global_store_b64 v[10:11], v[44:45], off
	;; [unrolled: 1-line block ×4, first 2 shown]
	s_and_b32 exec_lo, exec_lo, vcc_lo
	s_cbranch_execz .LBB0_31
; %bb.30:
	global_load_b64 v[2:3], v[120:121], off offset:4480
	ds_load_b64 v[4:5], v169 offset:4480
	ds_load_b64 v[6:7], v169 offset:9184
	v_add_co_u32 v0, vcc_lo, v0, s8
	s_wait_alu 0xfffd
	v_add_co_ci_u32_e32 v1, vcc_lo, s9, v1, vcc_lo
	s_wait_loadcnt_dscnt 0x1
	v_mul_f32_e32 v8, v5, v3
	v_mul_f32_e32 v3, v4, v3
	s_delay_alu instid0(VALU_DEP_2) | instskip(NEXT) | instid1(VALU_DEP_2)
	v_fmac_f32_e32 v8, v4, v2
	v_fma_f32 v4, v2, v5, -v3
	s_delay_alu instid0(VALU_DEP_2) | instskip(NEXT) | instid1(VALU_DEP_2)
	v_cvt_f64_f32_e32 v[2:3], v8
	v_cvt_f64_f32_e32 v[4:5], v4
	s_delay_alu instid0(VALU_DEP_2) | instskip(NEXT) | instid1(VALU_DEP_2)
	v_mul_f64_e32 v[2:3], s[2:3], v[2:3]
	v_mul_f64_e32 v[4:5], s[2:3], v[4:5]
	s_delay_alu instid0(VALU_DEP_2) | instskip(NEXT) | instid1(VALU_DEP_2)
	v_cvt_f32_f64_e32 v2, v[2:3]
	v_cvt_f32_f64_e32 v3, v[4:5]
	global_store_b64 v[0:1], v[2:3], off
	global_load_b64 v[2:3], v[120:121], off offset:9184
	v_add_co_u32 v0, vcc_lo, v0, s6
	s_wait_alu 0xfffd
	v_add_co_ci_u32_e32 v1, vcc_lo, s7, v1, vcc_lo
	s_wait_loadcnt_dscnt 0x0
	v_mul_f32_e32 v4, v7, v3
	v_mul_f32_e32 v3, v6, v3
	s_delay_alu instid0(VALU_DEP_2) | instskip(NEXT) | instid1(VALU_DEP_2)
	v_fmac_f32_e32 v4, v6, v2
	v_fma_f32 v5, v2, v7, -v3
	s_delay_alu instid0(VALU_DEP_2) | instskip(NEXT) | instid1(VALU_DEP_2)
	v_cvt_f64_f32_e32 v[2:3], v4
	v_cvt_f64_f32_e32 v[4:5], v5
	s_delay_alu instid0(VALU_DEP_2) | instskip(NEXT) | instid1(VALU_DEP_2)
	v_mul_f64_e32 v[2:3], s[2:3], v[2:3]
	v_mul_f64_e32 v[4:5], s[2:3], v[4:5]
	s_delay_alu instid0(VALU_DEP_2) | instskip(NEXT) | instid1(VALU_DEP_2)
	v_cvt_f32_f64_e32 v2, v[2:3]
	v_cvt_f32_f64_e32 v3, v[4:5]
	global_store_b64 v[0:1], v[2:3], off
.LBB0_31:
	s_nop 0
	s_sendmsg sendmsg(MSG_DEALLOC_VGPRS)
	s_endpgm
	.section	.rodata,"a",@progbits
	.p2align	6, 0x0
	.amdhsa_kernel bluestein_single_fwd_len1176_dim1_sp_op_CI_CI
		.amdhsa_group_segment_fixed_size 9408
		.amdhsa_private_segment_fixed_size 0
		.amdhsa_kernarg_size 104
		.amdhsa_user_sgpr_count 2
		.amdhsa_user_sgpr_dispatch_ptr 0
		.amdhsa_user_sgpr_queue_ptr 0
		.amdhsa_user_sgpr_kernarg_segment_ptr 1
		.amdhsa_user_sgpr_dispatch_id 0
		.amdhsa_user_sgpr_private_segment_size 0
		.amdhsa_wavefront_size32 1
		.amdhsa_uses_dynamic_stack 0
		.amdhsa_enable_private_segment 0
		.amdhsa_system_sgpr_workgroup_id_x 1
		.amdhsa_system_sgpr_workgroup_id_y 0
		.amdhsa_system_sgpr_workgroup_id_z 0
		.amdhsa_system_sgpr_workgroup_info 0
		.amdhsa_system_vgpr_workitem_id 0
		.amdhsa_next_free_vgpr 249
		.amdhsa_next_free_sgpr 16
		.amdhsa_reserve_vcc 1
		.amdhsa_float_round_mode_32 0
		.amdhsa_float_round_mode_16_64 0
		.amdhsa_float_denorm_mode_32 3
		.amdhsa_float_denorm_mode_16_64 3
		.amdhsa_fp16_overflow 0
		.amdhsa_workgroup_processor_mode 1
		.amdhsa_memory_ordered 1
		.amdhsa_forward_progress 0
		.amdhsa_round_robin_scheduling 0
		.amdhsa_exception_fp_ieee_invalid_op 0
		.amdhsa_exception_fp_denorm_src 0
		.amdhsa_exception_fp_ieee_div_zero 0
		.amdhsa_exception_fp_ieee_overflow 0
		.amdhsa_exception_fp_ieee_underflow 0
		.amdhsa_exception_fp_ieee_inexact 0
		.amdhsa_exception_int_div_zero 0
	.end_amdhsa_kernel
	.text
.Lfunc_end0:
	.size	bluestein_single_fwd_len1176_dim1_sp_op_CI_CI, .Lfunc_end0-bluestein_single_fwd_len1176_dim1_sp_op_CI_CI
                                        ; -- End function
	.section	.AMDGPU.csdata,"",@progbits
; Kernel info:
; codeLenInByte = 22288
; NumSgprs: 18
; NumVgprs: 249
; ScratchSize: 0
; MemoryBound: 0
; FloatMode: 240
; IeeeMode: 1
; LDSByteSize: 9408 bytes/workgroup (compile time only)
; SGPRBlocks: 2
; VGPRBlocks: 31
; NumSGPRsForWavesPerEU: 18
; NumVGPRsForWavesPerEU: 249
; Occupancy: 5
; WaveLimiterHint : 1
; COMPUTE_PGM_RSRC2:SCRATCH_EN: 0
; COMPUTE_PGM_RSRC2:USER_SGPR: 2
; COMPUTE_PGM_RSRC2:TRAP_HANDLER: 0
; COMPUTE_PGM_RSRC2:TGID_X_EN: 1
; COMPUTE_PGM_RSRC2:TGID_Y_EN: 0
; COMPUTE_PGM_RSRC2:TGID_Z_EN: 0
; COMPUTE_PGM_RSRC2:TIDIG_COMP_CNT: 0
	.text
	.p2alignl 7, 3214868480
	.fill 96, 4, 3214868480
	.type	__hip_cuid_a9671662e18bd58c,@object ; @__hip_cuid_a9671662e18bd58c
	.section	.bss,"aw",@nobits
	.globl	__hip_cuid_a9671662e18bd58c
__hip_cuid_a9671662e18bd58c:
	.byte	0                               ; 0x0
	.size	__hip_cuid_a9671662e18bd58c, 1

	.ident	"AMD clang version 19.0.0git (https://github.com/RadeonOpenCompute/llvm-project roc-6.4.0 25133 c7fe45cf4b819c5991fe208aaa96edf142730f1d)"
	.section	".note.GNU-stack","",@progbits
	.addrsig
	.addrsig_sym __hip_cuid_a9671662e18bd58c
	.amdgpu_metadata
---
amdhsa.kernels:
  - .args:
      - .actual_access:  read_only
        .address_space:  global
        .offset:         0
        .size:           8
        .value_kind:     global_buffer
      - .actual_access:  read_only
        .address_space:  global
        .offset:         8
        .size:           8
        .value_kind:     global_buffer
      - .actual_access:  read_only
        .address_space:  global
        .offset:         16
        .size:           8
        .value_kind:     global_buffer
      - .actual_access:  read_only
        .address_space:  global
        .offset:         24
        .size:           8
        .value_kind:     global_buffer
      - .actual_access:  read_only
        .address_space:  global
        .offset:         32
        .size:           8
        .value_kind:     global_buffer
      - .offset:         40
        .size:           8
        .value_kind:     by_value
      - .address_space:  global
        .offset:         48
        .size:           8
        .value_kind:     global_buffer
      - .address_space:  global
        .offset:         56
        .size:           8
        .value_kind:     global_buffer
      - .address_space:  global
        .offset:         64
        .size:           8
        .value_kind:     global_buffer
      - .address_space:  global
        .offset:         72
        .size:           8
        .value_kind:     global_buffer
      - .offset:         80
        .size:           4
        .value_kind:     by_value
      - .address_space:  global
        .offset:         88
        .size:           8
        .value_kind:     global_buffer
      - .address_space:  global
        .offset:         96
        .size:           8
        .value_kind:     global_buffer
    .group_segment_fixed_size: 9408
    .kernarg_segment_align: 8
    .kernarg_segment_size: 104
    .language:       OpenCL C
    .language_version:
      - 2
      - 0
    .max_flat_workgroup_size: 56
    .name:           bluestein_single_fwd_len1176_dim1_sp_op_CI_CI
    .private_segment_fixed_size: 0
    .sgpr_count:     18
    .sgpr_spill_count: 0
    .symbol:         bluestein_single_fwd_len1176_dim1_sp_op_CI_CI.kd
    .uniform_work_group_size: 1
    .uses_dynamic_stack: false
    .vgpr_count:     249
    .vgpr_spill_count: 0
    .wavefront_size: 32
    .workgroup_processor_mode: 1
amdhsa.target:   amdgcn-amd-amdhsa--gfx1201
amdhsa.version:
  - 1
  - 2
...

	.end_amdgpu_metadata
